;; amdgpu-corpus repo=ROCm/rocFFT kind=compiled arch=gfx1100 opt=O3
	.text
	.amdgcn_target "amdgcn-amd-amdhsa--gfx1100"
	.amdhsa_code_object_version 6
	.protected	fft_rtc_fwd_len2401_factors_7_7_7_7_wgs_49_tpt_49_halfLds_dp_op_CI_CI_sbrr_dirReg ; -- Begin function fft_rtc_fwd_len2401_factors_7_7_7_7_wgs_49_tpt_49_halfLds_dp_op_CI_CI_sbrr_dirReg
	.globl	fft_rtc_fwd_len2401_factors_7_7_7_7_wgs_49_tpt_49_halfLds_dp_op_CI_CI_sbrr_dirReg
	.p2align	8
	.type	fft_rtc_fwd_len2401_factors_7_7_7_7_wgs_49_tpt_49_halfLds_dp_op_CI_CI_sbrr_dirReg,@function
fft_rtc_fwd_len2401_factors_7_7_7_7_wgs_49_tpt_49_halfLds_dp_op_CI_CI_sbrr_dirReg: ; @fft_rtc_fwd_len2401_factors_7_7_7_7_wgs_49_tpt_49_halfLds_dp_op_CI_CI_sbrr_dirReg
; %bb.0:
	s_clause 0x2
	s_load_b128 s[16:19], s[0:1], 0x18
	s_load_b128 s[8:11], s[0:1], 0x0
	;; [unrolled: 1-line block ×3, first 2 shown]
	v_mul_u32_u24_e32 v1, 0x53a, v0
	v_mov_b32_e32 v4, 0
	v_mov_b32_e32 v5, 0
	s_waitcnt lgkmcnt(0)
	s_load_b64 s[20:21], s[16:17], 0x0
	s_load_b64 s[12:13], s[18:19], 0x0
	v_lshrrev_b32_e32 v2, 16, v1
	v_mov_b32_e32 v1, 0
	v_cmp_lt_u64_e64 s2, s[10:11], 2
	s_delay_alu instid0(VALU_DEP_2) | instskip(NEXT) | instid1(VALU_DEP_2)
	v_dual_mov_b32 v7, v1 :: v_dual_add_nc_u32 v6, s15, v2
	s_and_b32 vcc_lo, exec_lo, s2
	s_cbranch_vccnz .LBB0_8
; %bb.1:
	s_load_b64 s[2:3], s[0:1], 0x10
	v_mov_b32_e32 v4, 0
	v_mov_b32_e32 v5, 0
	s_add_u32 s14, s18, 8
	s_addc_u32 s15, s19, 0
	s_add_u32 s22, s16, 8
	s_addc_u32 s23, s17, 0
	v_dual_mov_b32 v197, v5 :: v_dual_mov_b32 v196, v4
	s_mov_b64 s[26:27], 1
	s_waitcnt lgkmcnt(0)
	s_add_u32 s24, s2, 8
	s_addc_u32 s25, s3, 0
.LBB0_2:                                ; =>This Inner Loop Header: Depth=1
	s_load_b64 s[28:29], s[24:25], 0x0
                                        ; implicit-def: $vgpr198_vgpr199
	s_mov_b32 s2, exec_lo
	s_waitcnt lgkmcnt(0)
	v_or_b32_e32 v2, s29, v7
	s_delay_alu instid0(VALU_DEP_1)
	v_cmpx_ne_u64_e32 0, v[1:2]
	s_xor_b32 s3, exec_lo, s2
	s_cbranch_execz .LBB0_4
; %bb.3:                                ;   in Loop: Header=BB0_2 Depth=1
	v_cvt_f32_u32_e32 v2, s28
	v_cvt_f32_u32_e32 v3, s29
	s_sub_u32 s2, 0, s28
	s_subb_u32 s30, 0, s29
	s_delay_alu instid0(VALU_DEP_1) | instskip(NEXT) | instid1(VALU_DEP_1)
	v_fmac_f32_e32 v2, 0x4f800000, v3
	v_rcp_f32_e32 v2, v2
	s_waitcnt_depctr 0xfff
	v_mul_f32_e32 v2, 0x5f7ffffc, v2
	s_delay_alu instid0(VALU_DEP_1) | instskip(NEXT) | instid1(VALU_DEP_1)
	v_mul_f32_e32 v3, 0x2f800000, v2
	v_trunc_f32_e32 v3, v3
	s_delay_alu instid0(VALU_DEP_1) | instskip(SKIP_1) | instid1(VALU_DEP_2)
	v_fmac_f32_e32 v2, 0xcf800000, v3
	v_cvt_u32_f32_e32 v3, v3
	v_cvt_u32_f32_e32 v2, v2
	s_delay_alu instid0(VALU_DEP_2) | instskip(NEXT) | instid1(VALU_DEP_2)
	v_mul_lo_u32 v8, s2, v3
	v_mul_hi_u32 v9, s2, v2
	v_mul_lo_u32 v10, s30, v2
	s_delay_alu instid0(VALU_DEP_2) | instskip(SKIP_1) | instid1(VALU_DEP_2)
	v_add_nc_u32_e32 v8, v9, v8
	v_mul_lo_u32 v9, s2, v2
	v_add_nc_u32_e32 v8, v8, v10
	s_delay_alu instid0(VALU_DEP_2) | instskip(NEXT) | instid1(VALU_DEP_2)
	v_mul_hi_u32 v10, v2, v9
	v_mul_lo_u32 v11, v2, v8
	v_mul_hi_u32 v12, v2, v8
	v_mul_hi_u32 v13, v3, v9
	v_mul_lo_u32 v9, v3, v9
	v_mul_hi_u32 v14, v3, v8
	v_mul_lo_u32 v8, v3, v8
	v_add_co_u32 v10, vcc_lo, v10, v11
	v_add_co_ci_u32_e32 v11, vcc_lo, 0, v12, vcc_lo
	s_delay_alu instid0(VALU_DEP_2) | instskip(NEXT) | instid1(VALU_DEP_2)
	v_add_co_u32 v9, vcc_lo, v10, v9
	v_add_co_ci_u32_e32 v9, vcc_lo, v11, v13, vcc_lo
	v_add_co_ci_u32_e32 v10, vcc_lo, 0, v14, vcc_lo
	s_delay_alu instid0(VALU_DEP_2) | instskip(NEXT) | instid1(VALU_DEP_2)
	v_add_co_u32 v8, vcc_lo, v9, v8
	v_add_co_ci_u32_e32 v9, vcc_lo, 0, v10, vcc_lo
	s_delay_alu instid0(VALU_DEP_2) | instskip(NEXT) | instid1(VALU_DEP_2)
	v_add_co_u32 v2, vcc_lo, v2, v8
	v_add_co_ci_u32_e32 v3, vcc_lo, v3, v9, vcc_lo
	s_delay_alu instid0(VALU_DEP_2) | instskip(SKIP_1) | instid1(VALU_DEP_3)
	v_mul_hi_u32 v8, s2, v2
	v_mul_lo_u32 v10, s30, v2
	v_mul_lo_u32 v9, s2, v3
	s_delay_alu instid0(VALU_DEP_1) | instskip(SKIP_1) | instid1(VALU_DEP_2)
	v_add_nc_u32_e32 v8, v8, v9
	v_mul_lo_u32 v9, s2, v2
	v_add_nc_u32_e32 v8, v8, v10
	s_delay_alu instid0(VALU_DEP_2) | instskip(NEXT) | instid1(VALU_DEP_2)
	v_mul_hi_u32 v10, v2, v9
	v_mul_lo_u32 v11, v2, v8
	v_mul_hi_u32 v12, v2, v8
	v_mul_hi_u32 v13, v3, v9
	v_mul_lo_u32 v9, v3, v9
	v_mul_hi_u32 v14, v3, v8
	v_mul_lo_u32 v8, v3, v8
	v_add_co_u32 v10, vcc_lo, v10, v11
	v_add_co_ci_u32_e32 v11, vcc_lo, 0, v12, vcc_lo
	s_delay_alu instid0(VALU_DEP_2) | instskip(NEXT) | instid1(VALU_DEP_2)
	v_add_co_u32 v9, vcc_lo, v10, v9
	v_add_co_ci_u32_e32 v9, vcc_lo, v11, v13, vcc_lo
	v_add_co_ci_u32_e32 v10, vcc_lo, 0, v14, vcc_lo
	s_delay_alu instid0(VALU_DEP_2) | instskip(NEXT) | instid1(VALU_DEP_2)
	v_add_co_u32 v8, vcc_lo, v9, v8
	v_add_co_ci_u32_e32 v9, vcc_lo, 0, v10, vcc_lo
	s_delay_alu instid0(VALU_DEP_2) | instskip(NEXT) | instid1(VALU_DEP_2)
	v_add_co_u32 v10, vcc_lo, v2, v8
	v_add_co_ci_u32_e32 v12, vcc_lo, v3, v9, vcc_lo
	s_delay_alu instid0(VALU_DEP_2) | instskip(SKIP_1) | instid1(VALU_DEP_3)
	v_mul_hi_u32 v13, v6, v10
	v_mad_u64_u32 v[8:9], null, v7, v10, 0
	v_mad_u64_u32 v[2:3], null, v6, v12, 0
	;; [unrolled: 1-line block ×3, first 2 shown]
	s_delay_alu instid0(VALU_DEP_2) | instskip(NEXT) | instid1(VALU_DEP_3)
	v_add_co_u32 v2, vcc_lo, v13, v2
	v_add_co_ci_u32_e32 v3, vcc_lo, 0, v3, vcc_lo
	s_delay_alu instid0(VALU_DEP_2) | instskip(NEXT) | instid1(VALU_DEP_2)
	v_add_co_u32 v2, vcc_lo, v2, v8
	v_add_co_ci_u32_e32 v2, vcc_lo, v3, v9, vcc_lo
	v_add_co_ci_u32_e32 v3, vcc_lo, 0, v11, vcc_lo
	s_delay_alu instid0(VALU_DEP_2) | instskip(NEXT) | instid1(VALU_DEP_2)
	v_add_co_u32 v8, vcc_lo, v2, v10
	v_add_co_ci_u32_e32 v9, vcc_lo, 0, v3, vcc_lo
	s_delay_alu instid0(VALU_DEP_2) | instskip(SKIP_1) | instid1(VALU_DEP_3)
	v_mul_lo_u32 v10, s29, v8
	v_mad_u64_u32 v[2:3], null, s28, v8, 0
	v_mul_lo_u32 v11, s28, v9
	s_delay_alu instid0(VALU_DEP_2) | instskip(NEXT) | instid1(VALU_DEP_2)
	v_sub_co_u32 v2, vcc_lo, v6, v2
	v_add3_u32 v3, v3, v11, v10
	s_delay_alu instid0(VALU_DEP_1) | instskip(NEXT) | instid1(VALU_DEP_1)
	v_sub_nc_u32_e32 v10, v7, v3
	v_subrev_co_ci_u32_e64 v10, s2, s29, v10, vcc_lo
	v_add_co_u32 v11, s2, v8, 2
	s_delay_alu instid0(VALU_DEP_1) | instskip(SKIP_3) | instid1(VALU_DEP_3)
	v_add_co_ci_u32_e64 v12, s2, 0, v9, s2
	v_sub_co_u32 v13, s2, v2, s28
	v_sub_co_ci_u32_e32 v3, vcc_lo, v7, v3, vcc_lo
	v_subrev_co_ci_u32_e64 v10, s2, 0, v10, s2
	v_cmp_le_u32_e32 vcc_lo, s28, v13
	s_delay_alu instid0(VALU_DEP_3) | instskip(SKIP_1) | instid1(VALU_DEP_4)
	v_cmp_eq_u32_e64 s2, s29, v3
	v_cndmask_b32_e64 v13, 0, -1, vcc_lo
	v_cmp_le_u32_e32 vcc_lo, s29, v10
	v_cndmask_b32_e64 v14, 0, -1, vcc_lo
	v_cmp_le_u32_e32 vcc_lo, s28, v2
	;; [unrolled: 2-line block ×3, first 2 shown]
	v_cndmask_b32_e64 v15, 0, -1, vcc_lo
	v_cmp_eq_u32_e32 vcc_lo, s29, v10
	s_delay_alu instid0(VALU_DEP_2) | instskip(SKIP_3) | instid1(VALU_DEP_3)
	v_cndmask_b32_e64 v2, v15, v2, s2
	v_cndmask_b32_e32 v10, v14, v13, vcc_lo
	v_add_co_u32 v13, vcc_lo, v8, 1
	v_add_co_ci_u32_e32 v14, vcc_lo, 0, v9, vcc_lo
	v_cmp_ne_u32_e32 vcc_lo, 0, v10
	s_delay_alu instid0(VALU_DEP_2) | instskip(SKIP_1) | instid1(VALU_DEP_2)
	v_dual_cndmask_b32 v3, v14, v12 :: v_dual_cndmask_b32 v10, v13, v11
	v_cmp_ne_u32_e32 vcc_lo, 0, v2
	v_dual_cndmask_b32 v199, v9, v3 :: v_dual_cndmask_b32 v198, v8, v10
.LBB0_4:                                ;   in Loop: Header=BB0_2 Depth=1
	s_and_not1_saveexec_b32 s2, s3
	s_cbranch_execz .LBB0_6
; %bb.5:                                ;   in Loop: Header=BB0_2 Depth=1
	v_cvt_f32_u32_e32 v2, s28
	s_sub_i32 s3, 0, s28
	v_mov_b32_e32 v199, v1
	s_delay_alu instid0(VALU_DEP_2) | instskip(SKIP_2) | instid1(VALU_DEP_1)
	v_rcp_iflag_f32_e32 v2, v2
	s_waitcnt_depctr 0xfff
	v_mul_f32_e32 v2, 0x4f7ffffe, v2
	v_cvt_u32_f32_e32 v2, v2
	s_delay_alu instid0(VALU_DEP_1) | instskip(NEXT) | instid1(VALU_DEP_1)
	v_mul_lo_u32 v3, s3, v2
	v_mul_hi_u32 v3, v2, v3
	s_delay_alu instid0(VALU_DEP_1) | instskip(NEXT) | instid1(VALU_DEP_1)
	v_add_nc_u32_e32 v2, v2, v3
	v_mul_hi_u32 v2, v6, v2
	s_delay_alu instid0(VALU_DEP_1) | instskip(SKIP_1) | instid1(VALU_DEP_2)
	v_mul_lo_u32 v3, v2, s28
	v_add_nc_u32_e32 v8, 1, v2
	v_sub_nc_u32_e32 v3, v6, v3
	s_delay_alu instid0(VALU_DEP_1) | instskip(SKIP_1) | instid1(VALU_DEP_2)
	v_subrev_nc_u32_e32 v9, s28, v3
	v_cmp_le_u32_e32 vcc_lo, s28, v3
	v_dual_cndmask_b32 v3, v3, v9 :: v_dual_cndmask_b32 v2, v2, v8
	s_delay_alu instid0(VALU_DEP_1) | instskip(NEXT) | instid1(VALU_DEP_2)
	v_cmp_le_u32_e32 vcc_lo, s28, v3
	v_add_nc_u32_e32 v8, 1, v2
	s_delay_alu instid0(VALU_DEP_1)
	v_cndmask_b32_e32 v198, v2, v8, vcc_lo
.LBB0_6:                                ;   in Loop: Header=BB0_2 Depth=1
	s_or_b32 exec_lo, exec_lo, s2
	s_delay_alu instid0(VALU_DEP_1) | instskip(NEXT) | instid1(VALU_DEP_2)
	v_mul_lo_u32 v8, v199, s28
	v_mul_lo_u32 v9, v198, s29
	s_load_b64 s[2:3], s[22:23], 0x0
	v_mad_u64_u32 v[2:3], null, v198, s28, 0
	s_load_b64 s[28:29], s[14:15], 0x0
	s_add_u32 s26, s26, 1
	s_addc_u32 s27, s27, 0
	s_add_u32 s14, s14, 8
	s_addc_u32 s15, s15, 0
	s_add_u32 s22, s22, 8
	s_delay_alu instid0(VALU_DEP_1) | instskip(SKIP_3) | instid1(VALU_DEP_2)
	v_add3_u32 v3, v3, v9, v8
	v_sub_co_u32 v8, vcc_lo, v6, v2
	s_addc_u32 s23, s23, 0
	s_add_u32 s24, s24, 8
	v_sub_co_ci_u32_e32 v6, vcc_lo, v7, v3, vcc_lo
	s_addc_u32 s25, s25, 0
	s_waitcnt lgkmcnt(0)
	s_delay_alu instid0(VALU_DEP_1)
	v_mul_lo_u32 v9, s2, v6
	v_mul_lo_u32 v10, s3, v8
	v_mad_u64_u32 v[2:3], null, s2, v8, v[4:5]
	v_mul_lo_u32 v11, s28, v6
	v_mul_lo_u32 v12, s29, v8
	v_mad_u64_u32 v[6:7], null, s28, v8, v[196:197]
	v_cmp_ge_u64_e64 s2, s[26:27], s[10:11]
	v_add3_u32 v5, v10, v3, v9
	v_mov_b32_e32 v4, v2
	s_delay_alu instid0(VALU_DEP_4)
	v_add3_u32 v197, v12, v7, v11
	v_mov_b32_e32 v196, v6
	s_and_b32 vcc_lo, exec_lo, s2
	s_cbranch_vccnz .LBB0_9
; %bb.7:                                ;   in Loop: Header=BB0_2 Depth=1
	v_dual_mov_b32 v6, v198 :: v_dual_mov_b32 v7, v199
	s_branch .LBB0_2
.LBB0_8:
	v_dual_mov_b32 v197, v5 :: v_dual_mov_b32 v196, v4
	s_delay_alu instid0(VALU_DEP_2)
	v_dual_mov_b32 v199, v7 :: v_dual_mov_b32 v198, v6
.LBB0_9:
	s_load_b64 s[0:1], s[0:1], 0x28
	v_mul_hi_u32 v1, 0x539782a, v0
	s_lshl_b64 s[2:3], s[10:11], 3
                                        ; implicit-def: $vgpr233
                                        ; implicit-def: $vgpr254
                                        ; implicit-def: $vgpr252
                                        ; implicit-def: $vgpr2
                                        ; kill: killed $vgpr2
                                        ; implicit-def: $vgpr253
                                        ; implicit-def: $vgpr229
                                        ; implicit-def: $vgpr255
	s_delay_alu instid0(SALU_CYCLE_1) | instskip(SKIP_4) | instid1(VALU_DEP_1)
	s_add_u32 s26, s18, s2
	s_addc_u32 s27, s19, s3
	s_waitcnt lgkmcnt(0)
	v_cmp_gt_u64_e32 vcc_lo, s[0:1], v[198:199]
	v_cmp_le_u64_e64 s0, s[0:1], v[198:199]
	s_and_saveexec_b32 s1, s0
	s_delay_alu instid0(SALU_CYCLE_1)
	s_xor_b32 s0, exec_lo, s1
	s_cbranch_execz .LBB0_11
; %bb.10:
	v_mul_u32_u24_e32 v1, 49, v1
                                        ; implicit-def: $vgpr4_vgpr5
	s_delay_alu instid0(VALU_DEP_1) | instskip(NEXT) | instid1(VALU_DEP_1)
	v_sub_nc_u32_e32 v233, v0, v1
                                        ; implicit-def: $vgpr1
	v_add_nc_u32_e32 v254, 49, v233
	v_add_nc_u32_e32 v252, 0x62, v233
	v_add_nc_u32_e32 v0, 0x93, v233
	v_add_nc_u32_e32 v253, 0xc4, v233
	v_add_nc_u32_e32 v229, 0xf5, v233
	v_add_nc_u32_e32 v255, 0x126, v233
	scratch_store_b32 off, v0, off offset:24 ; 4-byte Folded Spill
                                        ; implicit-def: $vgpr0
.LBB0_11:
	s_or_saveexec_b32 s1, s0
                                        ; implicit-def: $vgpr2_vgpr3
                                        ; implicit-def: $vgpr50_vgpr51
                                        ; implicit-def: $vgpr42_vgpr43
                                        ; implicit-def: $vgpr34_vgpr35
                                        ; implicit-def: $vgpr30_vgpr31
                                        ; implicit-def: $vgpr38_vgpr39
                                        ; implicit-def: $vgpr46_vgpr47
                                        ; implicit-def: $vgpr146_vgpr147
                                        ; implicit-def: $vgpr138_vgpr139
                                        ; implicit-def: $vgpr130_vgpr131
                                        ; implicit-def: $vgpr126_vgpr127
                                        ; implicit-def: $vgpr134_vgpr135
                                        ; implicit-def: $vgpr142_vgpr143
                                        ; implicit-def: $vgpr18_vgpr19
                                        ; implicit-def: $vgpr170_vgpr171
                                        ; implicit-def: $vgpr162_vgpr163
                                        ; implicit-def: $vgpr154_vgpr155
                                        ; implicit-def: $vgpr150_vgpr151
                                        ; implicit-def: $vgpr158_vgpr159
                                        ; implicit-def: $vgpr166_vgpr167
                                        ; implicit-def: $vgpr22_vgpr23
                                        ; implicit-def: $vgpr194_vgpr195
                                        ; implicit-def: $vgpr190_vgpr191
                                        ; implicit-def: $vgpr182_vgpr183
                                        ; implicit-def: $vgpr178_vgpr179
                                        ; implicit-def: $vgpr186_vgpr187
                                        ; implicit-def: $vgpr174_vgpr175
                                        ; implicit-def: $vgpr26_vgpr27
	s_clause 0x3
	scratch_store_b128 off, v[0:3], off offset:48
	; meta instruction
	; meta instruction
	; meta instruction
	; meta instruction
	; meta instruction
	; meta instruction
	; meta instruction
	scratch_store_b128 off, v[0:3], off offset:64
	; meta instruction
	; meta instruction
	; meta instruction
	; meta instruction
	; meta instruction
	; meta instruction
	; meta instruction
	;; [unrolled: 8-line block ×3, first 2 shown]
	scratch_store_b128 off, v[0:3], off offset:96
	s_xor_b32 exec_lo, exec_lo, s1
	s_cbranch_execz .LBB0_13
; %bb.12:
	v_mul_u32_u24_e32 v1, 49, v1
	s_add_u32 s2, s16, s2
	s_addc_u32 s3, s17, s3
	v_lshlrev_b64 v[2:3], 4, v[4:5]
	s_load_b64 s[2:3], s[2:3], 0x0
	v_sub_nc_u32_e32 v233, v0, v1
	s_delay_alu instid0(VALU_DEP_1)
	v_mad_u64_u32 v[0:1], null, s20, v233, 0
	v_add_nc_u32_e32 v17, 0x405, v233
	v_add_nc_u32_e32 v38, 0x83b, v233
	v_add_nc_u32_e32 v39, 0x1b9, v233
	v_add_nc_u32_e32 v45, 0x5be, v233
	v_add_nc_u32_e32 v51, 0x93, v233
	v_add_nc_u32_e32 v253, 0xc4, v233
	v_mad_u64_u32 v[10:11], null, s21, v233, v[1:2]
	v_mad_u64_u32 v[11:12], null, s20, v17, 0
	v_add_nc_u32_e32 v15, 0x157, v233
	v_mad_u64_u32 v[34:35], null, s20, v38, 0
	s_waitcnt lgkmcnt(0)
	v_mul_lo_u32 v13, s3, v198
	v_mul_lo_u32 v14, s2, v199
	v_mad_u64_u32 v[4:5], null, s20, v15, 0
	v_add_nc_u32_e32 v16, 0x2ae, v233
	v_mad_u64_u32 v[8:9], null, s2, v198, 0
	v_add_nc_u32_e32 v19, 0x6b3, v233
	scratch_store_b32 off, v51, off offset:24 ; 4-byte Folded Spill
	v_mad_u64_u32 v[64:65], null, s20, v253, 0
	v_mov_b32_e32 v1, v5
	v_mad_u64_u32 v[6:7], null, s20, v16, 0
	v_add3_u32 v9, v9, v14, v13
	v_add_nc_u32_e32 v18, 0x55c, v233
	s_delay_alu instid0(VALU_DEP_4) | instskip(SKIP_4) | instid1(VALU_DEP_4)
	v_mad_u64_u32 v[13:14], null, s21, v15, v[1:2]
	v_dual_mov_b32 v1, v10 :: v_dual_add_nc_u32 v22, 0x80a, v233
	v_mov_b32_e32 v5, v7
	v_lshlrev_b64 v[7:8], 4, v[8:9]
	v_mad_u64_u32 v[14:15], null, s20, v18, 0
	v_lshlrev_b64 v[0:1], 4, v[0:1]
	s_delay_alu instid0(VALU_DEP_4)
	v_mad_u64_u32 v[9:10], null, s21, v16, v[5:6]
	v_mov_b32_e32 v10, v12
	v_add_co_u32 v12, s0, s4, v7
	v_dual_mov_b32 v5, v13 :: v_dual_add_nc_u32 v254, 49, v233
	v_add_co_ci_u32_e64 v8, s0, s5, v8, s0
	v_dual_mov_b32 v7, v9 :: v_dual_add_nc_u32 v24, 0x188, v233
	s_delay_alu instid0(VALU_DEP_4) | instskip(NEXT) | instid1(VALU_DEP_1)
	v_add_co_u32 v20, s0, v12, v2
	v_add_co_ci_u32_e64 v21, s0, v8, v3, s0
	v_lshlrev_b64 v[2:3], 4, v[4:5]
	v_mad_u64_u32 v[4:5], null, s21, v17, v[10:11]
	v_mad_u64_u32 v[16:17], null, s20, v19, 0
	v_lshlrev_b64 v[5:6], 4, v[6:7]
	v_dual_mov_b32 v7, v15 :: v_dual_add_nc_u32 v26, 0x2df, v233
	v_add_co_u32 v0, s0, v20, v0
	s_delay_alu instid0(VALU_DEP_1) | instskip(NEXT) | instid1(VALU_DEP_3)
	v_add_co_ci_u32_e64 v1, s0, v21, v1, s0
	v_mad_u64_u32 v[8:9], null, s21, v18, v[7:8]
	v_add_co_u32 v2, s0, v20, v2
	v_dual_mov_b32 v12, v4 :: v_dual_mov_b32 v9, v17
	v_add_nc_u32_e32 v28, 0x436, v233
	v_add_co_ci_u32_e64 v3, s0, v21, v3, s0
	v_add_co_u32 v4, s0, v20, v5
	s_delay_alu instid0(VALU_DEP_1)
	v_add_co_ci_u32_e64 v5, s0, v21, v6, s0
	v_lshlrev_b64 v[6:7], 4, v[11:12]
	v_mad_u64_u32 v[12:13], null, s20, v22, 0
	v_mad_u64_u32 v[10:11], null, s21, v19, v[9:10]
	v_dual_mov_b32 v15, v8 :: v_dual_add_nc_u32 v30, 0x58d, v233
	v_add_nc_u32_e32 v32, 0x6e4, v233
	s_delay_alu instid0(VALU_DEP_4) | instskip(NEXT) | instid1(VALU_DEP_3)
	v_dual_mov_b32 v11, v13 :: v_dual_add_nc_u32 v252, 0x62, v233
	v_lshlrev_b64 v[8:9], 4, v[14:15]
	v_mov_b32_e32 v17, v10
	v_mad_u64_u32 v[14:15], null, s20, v254, 0
	s_delay_alu instid0(VALU_DEP_4) | instskip(NEXT) | instid1(VALU_DEP_3)
	v_mad_u64_u32 v[18:19], null, s21, v22, v[11:12]
	v_lshlrev_b64 v[10:11], 4, v[16:17]
	v_mad_u64_u32 v[16:17], null, s20, v24, 0
	v_mad_u64_u32 v[36:37], null, s20, v252, 0
	s_delay_alu instid0(VALU_DEP_4) | instskip(SKIP_1) | instid1(VALU_DEP_4)
	v_dual_mov_b32 v13, v18 :: v_dual_add_nc_u32 v44, 0x310, v233
	v_add_co_u32 v6, s0, v20, v6
	v_mad_u64_u32 v[18:19], null, s21, v254, v[15:16]
	s_delay_alu instid0(VALU_DEP_3) | instskip(SKIP_2) | instid1(VALU_DEP_4)
	v_mad_u64_u32 v[40:41], null, s20, v44, 0
	v_add_co_ci_u32_e64 v7, s0, v21, v7, s0
	v_add_co_u32 v8, s0, v20, v8
	v_mov_b32_e32 v15, v18
	v_mad_u64_u32 v[18:19], null, s20, v26, 0
	v_lshlrev_b64 v[12:13], 4, v[12:13]
	v_add_co_ci_u32_e64 v9, s0, v21, v9, s0
	v_add_co_u32 v10, s0, v20, v10
	v_lshlrev_b64 v[14:15], 4, v[14:15]
	v_mad_u64_u32 v[22:23], null, s21, v24, v[17:18]
	v_mad_u64_u32 v[24:25], null, s21, v26, v[19:20]
	v_add_co_ci_u32_e64 v11, s0, v21, v11, s0
	v_add_co_u32 v12, s0, v20, v12
	s_delay_alu instid0(VALU_DEP_4) | instskip(SKIP_3) | instid1(VALU_DEP_4)
	v_mov_b32_e32 v17, v22
	v_mad_u64_u32 v[22:23], null, s20, v28, 0
	v_mov_b32_e32 v19, v24
	v_mad_u64_u32 v[24:25], null, s20, v30, 0
	v_lshlrev_b64 v[16:17], 4, v[16:17]
	v_add_co_ci_u32_e64 v13, s0, v21, v13, s0
	v_add_co_u32 v14, s0, v20, v14
	v_lshlrev_b64 v[18:19], 4, v[18:19]
	v_mad_u64_u32 v[26:27], null, s21, v28, v[23:24]
	v_add_co_ci_u32_e64 v15, s0, v21, v15, s0
	v_add_co_u32 v16, s0, v20, v16
	s_delay_alu instid0(VALU_DEP_1) | instskip(NEXT) | instid1(VALU_DEP_4)
	v_add_co_ci_u32_e64 v17, s0, v21, v17, s0
	v_mov_b32_e32 v23, v26
	v_mad_u64_u32 v[26:27], null, s20, v32, 0
	v_add_co_u32 v18, s0, v20, v18
	s_delay_alu instid0(VALU_DEP_3)
	v_lshlrev_b64 v[22:23], 4, v[22:23]
	v_add_co_ci_u32_e64 v19, s0, v21, v19, s0
	v_add_nc_u32_e32 v50, 0x715, v233
	v_mad_u64_u32 v[28:29], null, s21, v30, v[25:26]
	v_add_nc_u32_e32 v63, 0x89d, v233
	v_add_nc_u32_e32 v71, 0x4c9, v233
	s_delay_alu instid0(VALU_DEP_4)
	v_mad_u64_u32 v[46:47], null, s20, v50, 0
	v_add_nc_u32_e32 v75, 0x777, v233
	v_add_nc_u32_e32 v229, 0xf5, v233
	v_mov_b32_e32 v25, v28
	v_mad_u64_u32 v[30:31], null, s21, v32, v[27:28]
	v_add_co_u32 v28, s0, v20, v22
	s_delay_alu instid0(VALU_DEP_1) | instskip(NEXT) | instid1(VALU_DEP_4)
	v_add_co_ci_u32_e64 v29, s0, v21, v23, s0
	v_lshlrev_b64 v[22:23], 4, v[24:25]
	s_delay_alu instid0(VALU_DEP_4) | instskip(SKIP_3) | instid1(VALU_DEP_4)
	v_dual_mov_b32 v24, v35 :: v_dual_mov_b32 v27, v30
	v_add_nc_u32_e32 v56, 0x1ea, v233
	v_add_nc_u32_e32 v62, 0x5ef, v233
	;; [unrolled: 1-line block ×3, first 2 shown]
	v_mad_u64_u32 v[32:33], null, s21, v38, v[24:25]
	v_add_co_u32 v30, s0, v20, v22
	s_delay_alu instid0(VALU_DEP_1) | instskip(SKIP_4) | instid1(VALU_DEP_4)
	v_add_co_ci_u32_e64 v31, s0, v21, v23, s0
	v_lshlrev_b64 v[22:23], 4, v[26:27]
	v_mad_u64_u32 v[25:26], null, s20, v39, 0
	v_dual_mov_b32 v24, v37 :: v_dual_mov_b32 v35, v32
	v_mad_u64_u32 v[52:53], null, s20, v56, 0
	v_add_co_u32 v32, s0, v20, v22
	s_delay_alu instid0(VALU_DEP_3)
	v_mad_u64_u32 v[37:38], null, s21, v252, v[24:25]
	v_add_co_ci_u32_e64 v33, s0, v21, v23, s0
	v_lshlrev_b64 v[22:23], 4, v[34:35]
	v_mov_b32_e32 v24, v26
	v_mad_u64_u32 v[58:59], null, s20, v62, 0
	v_add_nc_u32_e32 v57, 0x498, v233
	v_add_nc_u32_e32 v82, 0x682, v233
	s_delay_alu instid0(VALU_DEP_4) | instskip(SKIP_4) | instid1(VALU_DEP_3)
	v_mad_u64_u32 v[26:27], null, s21, v39, v[24:25]
	v_add_co_u32 v34, s0, v20, v22
	v_dual_mov_b32 v24, v41 :: v_dual_add_nc_u32 v27, 0x467, v233
	v_add_co_ci_u32_e64 v35, s0, v21, v23, s0
	v_lshlrev_b64 v[22:23], 4, v[36:37]
	v_mad_u64_u32 v[42:43], null, s20, v27, 0
	s_delay_alu instid0(VALU_DEP_4) | instskip(SKIP_1) | instid1(VALU_DEP_4)
	v_mad_u64_u32 v[38:39], null, s21, v44, v[24:25]
	v_add_nc_u32_e32 v84, 0x7d9, v233
	v_add_co_u32 v36, s0, v20, v22
	s_delay_alu instid0(VALU_DEP_1) | instskip(SKIP_3) | instid1(VALU_DEP_3)
	v_add_co_ci_u32_e64 v37, s0, v21, v23, s0
	v_lshlrev_b64 v[22:23], 4, v[25:26]
	v_mad_u64_u32 v[25:26], null, s20, v45, 0
	v_dual_mov_b32 v24, v43 :: v_dual_mov_b32 v41, v38
	v_add_co_u32 v38, s0, v20, v22
	s_delay_alu instid0(VALU_DEP_1) | instskip(NEXT) | instid1(VALU_DEP_3)
	v_add_co_ci_u32_e64 v39, s0, v21, v23, s0
	v_mad_u64_u32 v[43:44], null, s21, v27, v[24:25]
	s_delay_alu instid0(VALU_DEP_4) | instskip(SKIP_1) | instid1(VALU_DEP_1)
	v_lshlrev_b64 v[22:23], 4, v[40:41]
	v_mov_b32_e32 v24, v26
	v_mad_u64_u32 v[26:27], null, s21, v45, v[24:25]
	s_delay_alu instid0(VALU_DEP_3) | instskip(SKIP_3) | instid1(VALU_DEP_3)
	v_add_co_u32 v40, s0, v20, v22
	v_dual_mov_b32 v24, v47 :: v_dual_add_nc_u32 v27, 0x86c, v233
	v_add_co_ci_u32_e64 v41, s0, v21, v23, s0
	v_lshlrev_b64 v[22:23], 4, v[42:43]
	v_mad_u64_u32 v[48:49], null, s20, v27, 0
	s_delay_alu instid0(VALU_DEP_4) | instskip(NEXT) | instid1(VALU_DEP_3)
	v_mad_u64_u32 v[44:45], null, s21, v50, v[24:25]
	v_add_co_u32 v42, s0, v20, v22
	s_delay_alu instid0(VALU_DEP_1) | instskip(SKIP_3) | instid1(VALU_DEP_3)
	v_add_co_ci_u32_e64 v43, s0, v21, v23, s0
	v_lshlrev_b64 v[22:23], 4, v[25:26]
	v_mad_u64_u32 v[25:26], null, s20, v51, 0
	v_dual_mov_b32 v24, v49 :: v_dual_mov_b32 v47, v44
	v_add_co_u32 v44, s0, v20, v22
	s_delay_alu instid0(VALU_DEP_1) | instskip(NEXT) | instid1(VALU_DEP_3)
	v_add_co_ci_u32_e64 v45, s0, v21, v23, s0
	v_mad_u64_u32 v[49:50], null, s21, v27, v[24:25]
	s_delay_alu instid0(VALU_DEP_4) | instskip(SKIP_1) | instid1(VALU_DEP_2)
	v_lshlrev_b64 v[22:23], 4, v[46:47]
	v_mov_b32_e32 v24, v26
	v_add_co_u32 v46, s0, v20, v22
	s_delay_alu instid0(VALU_DEP_2) | instskip(NEXT) | instid1(VALU_DEP_4)
	v_mad_u64_u32 v[26:27], null, s21, v51, v[24:25]
	v_add_co_ci_u32_e64 v47, s0, v21, v23, s0
	v_lshlrev_b64 v[22:23], 4, v[48:49]
	v_mov_b32_e32 v24, v53
	s_delay_alu instid0(VALU_DEP_2) | instskip(NEXT) | instid1(VALU_DEP_2)
	v_add_co_u32 v48, s0, v20, v22
	v_mad_u64_u32 v[50:51], null, s21, v56, v[24:25]
	s_delay_alu instid0(VALU_DEP_4) | instskip(SKIP_3) | instid1(VALU_DEP_1)
	v_add_co_ci_u32_e64 v49, s0, v21, v23, s0
	v_lshlrev_b64 v[22:23], 4, v[25:26]
	v_mad_u64_u32 v[25:26], null, s20, v57, 0
	v_add_nc_u32_e32 v27, 0x341, v233
	v_mad_u64_u32 v[54:55], null, s20, v27, 0
	s_delay_alu instid0(VALU_DEP_1) | instskip(NEXT) | instid1(VALU_DEP_1)
	v_mov_b32_e32 v24, v55
	v_mad_u64_u32 v[55:56], null, s21, v27, v[24:25]
	v_mov_b32_e32 v24, v26
	s_delay_alu instid0(VALU_DEP_1) | instskip(SKIP_1) | instid1(VALU_DEP_1)
	v_mad_u64_u32 v[26:27], null, s21, v57, v[24:25]
	v_dual_mov_b32 v24, v59 :: v_dual_add_nc_u32 v27, 0x746, v233
	v_mad_u64_u32 v[60:61], null, s20, v27, 0
	v_mov_b32_e32 v53, v50
	v_add_co_u32 v50, s0, v20, v22
	s_delay_alu instid0(VALU_DEP_1) | instskip(SKIP_3) | instid1(VALU_DEP_3)
	v_add_co_ci_u32_e64 v51, s0, v21, v23, s0
	v_mad_u64_u32 v[56:57], null, s21, v62, v[24:25]
	v_mov_b32_e32 v24, v61
	v_lshlrev_b64 v[22:23], 4, v[52:53]
	v_mov_b32_e32 v59, v56
	s_delay_alu instid0(VALU_DEP_2) | instskip(NEXT) | instid1(VALU_DEP_1)
	v_add_co_u32 v52, s0, v20, v22
	v_add_co_ci_u32_e64 v53, s0, v21, v23, s0
	v_lshlrev_b64 v[22:23], 4, v[54:55]
	s_delay_alu instid0(VALU_DEP_1) | instskip(NEXT) | instid1(VALU_DEP_1)
	v_add_co_u32 v54, s0, v20, v22
	v_add_co_ci_u32_e64 v55, s0, v21, v23, s0
	v_lshlrev_b64 v[22:23], 4, v[25:26]
	v_mad_u64_u32 v[25:26], null, s20, v63, 0
	s_delay_alu instid0(VALU_DEP_2) | instskip(NEXT) | instid1(VALU_DEP_1)
	v_add_co_u32 v56, s0, v20, v22
	v_add_co_ci_u32_e64 v57, s0, v21, v23, s0
	s_delay_alu instid0(VALU_DEP_3) | instskip(SKIP_2) | instid1(VALU_DEP_2)
	v_mad_u64_u32 v[61:62], null, s21, v27, v[24:25]
	v_lshlrev_b64 v[22:23], 4, v[58:59]
	v_mov_b32_e32 v24, v26
	v_add_co_u32 v58, s0, v20, v22
	s_delay_alu instid0(VALU_DEP_2) | instskip(NEXT) | instid1(VALU_DEP_4)
	v_mad_u64_u32 v[26:27], null, s21, v63, v[24:25]
	v_add_co_ci_u32_e64 v59, s0, v21, v23, s0
	v_lshlrev_b64 v[22:23], 4, v[60:61]
	v_mov_b32_e32 v24, v65
	s_delay_alu instid0(VALU_DEP_2) | instskip(NEXT) | instid1(VALU_DEP_2)
	v_add_co_u32 v60, s0, v20, v22
	v_mad_u64_u32 v[62:63], null, s21, v253, v[24:25]
	s_delay_alu instid0(VALU_DEP_4) | instskip(SKIP_3) | instid1(VALU_DEP_1)
	v_add_co_ci_u32_e64 v61, s0, v21, v23, s0
	v_lshlrev_b64 v[22:23], 4, v[25:26]
	v_mad_u64_u32 v[25:26], null, s20, v70, 0
	v_add_nc_u32_e32 v27, 0x21b, v233
	v_mad_u64_u32 v[66:67], null, s20, v27, 0
	s_delay_alu instid0(VALU_DEP_1) | instskip(NEXT) | instid1(VALU_DEP_1)
	v_mov_b32_e32 v24, v67
	v_mad_u64_u32 v[67:68], null, s21, v27, v[24:25]
	v_mov_b32_e32 v24, v26
	v_mad_u64_u32 v[68:69], null, s20, v71, 0
	v_mov_b32_e32 v65, v62
	v_add_co_u32 v62, s0, v20, v22
	s_delay_alu instid0(VALU_DEP_1) | instskip(SKIP_3) | instid1(VALU_DEP_2)
	v_add_co_ci_u32_e64 v63, s0, v21, v23, s0
	v_mad_u64_u32 v[26:27], null, s21, v70, v[24:25]
	v_mov_b32_e32 v24, v69
	v_lshlrev_b64 v[22:23], 4, v[64:65]
	v_mad_u64_u32 v[69:70], null, s21, v71, v[24:25]
	s_delay_alu instid0(VALU_DEP_2) | instskip(NEXT) | instid1(VALU_DEP_1)
	v_add_co_u32 v64, s0, v20, v22
	v_add_co_ci_u32_e64 v65, s0, v21, v23, s0
	v_lshlrev_b64 v[22:23], 4, v[66:67]
	s_delay_alu instid0(VALU_DEP_1) | instskip(NEXT) | instid1(VALU_DEP_1)
	v_add_co_u32 v70, s0, v20, v22
	v_add_co_ci_u32_e64 v71, s0, v21, v23, s0
	v_lshlrev_b64 v[22:23], 4, v[25:26]
	v_mad_u64_u32 v[25:26], null, s20, v75, 0
	v_add_nc_u32_e32 v27, 0x620, v233
	s_delay_alu instid0(VALU_DEP_1) | instskip(NEXT) | instid1(VALU_DEP_1)
	v_mad_u64_u32 v[66:67], null, s20, v27, 0
	v_mov_b32_e32 v24, v67
	s_delay_alu instid0(VALU_DEP_1) | instskip(SKIP_2) | instid1(VALU_DEP_1)
	v_mad_u64_u32 v[72:73], null, s21, v27, v[24:25]
	v_mov_b32_e32 v24, v26
	v_add_co_u32 v73, s0, v20, v22
	v_add_co_ci_u32_e64 v74, s0, v21, v23, s0
	v_lshlrev_b64 v[22:23], 4, v[68:69]
	v_dual_mov_b32 v67, v72 :: v_dual_add_nc_u32 v72, 0x24c, v233
	v_mad_u64_u32 v[26:27], null, s21, v75, v[24:25]
	s_delay_alu instid0(VALU_DEP_3) | instskip(NEXT) | instid1(VALU_DEP_1)
	v_add_co_u32 v75, s0, v20, v22
	v_add_co_ci_u32_e64 v76, s0, v21, v23, s0
	s_delay_alu instid0(VALU_DEP_4) | instskip(SKIP_2) | instid1(VALU_DEP_3)
	v_lshlrev_b64 v[22:23], 4, v[66:67]
	v_mad_u64_u32 v[66:67], null, s20, v229, 0
	v_add_nc_u32_e32 v79, 0x8ce, v233
	v_add_co_u32 v80, s0, v20, v22
	s_delay_alu instid0(VALU_DEP_2) | instskip(SKIP_2) | instid1(VALU_DEP_3)
	v_mad_u64_u32 v[68:69], null, s20, v79, 0
	v_add_co_ci_u32_e64 v81, s0, v21, v23, s0
	v_lshlrev_b64 v[22:23], 4, v[25:26]
	v_mov_b32_e32 v24, v69
	s_delay_alu instid0(VALU_DEP_2) | instskip(NEXT) | instid1(VALU_DEP_1)
	v_add_co_u32 v88, s0, v20, v22
	v_add_co_ci_u32_e64 v89, s0, v21, v23, s0
	s_delay_alu instid0(VALU_DEP_3) | instskip(SKIP_3) | instid1(VALU_DEP_4)
	v_mad_u64_u32 v[77:78], null, s21, v79, v[24:25]
	v_mov_b32_e32 v24, v67
	v_mad_u64_u32 v[25:26], null, s20, v72, 0
	v_add_nc_u32_e32 v79, 0x3a3, v233
	v_mov_b32_e32 v69, v77
	s_delay_alu instid0(VALU_DEP_3) | instskip(NEXT) | instid1(VALU_DEP_4)
	v_mad_u64_u32 v[77:78], null, s21, v229, v[24:25]
	v_mov_b32_e32 v24, v26
	s_delay_alu instid0(VALU_DEP_1)
	v_mad_u64_u32 v[26:27], null, s21, v72, v[24:25]
	v_add_nc_u32_e32 v72, 0x651, v233
	v_lshlrev_b64 v[22:23], 4, v[68:69]
	v_mad_u64_u32 v[68:69], null, s20, v79, 0
	v_mov_b32_e32 v67, v77
	v_add_nc_u32_e32 v27, 0x4fa, v233
	s_delay_alu instid0(VALU_DEP_4) | instskip(NEXT) | instid1(VALU_DEP_1)
	v_add_co_u32 v96, s0, v20, v22
	v_add_co_ci_u32_e64 v97, s0, v21, v23, s0
	s_delay_alu instid0(VALU_DEP_4) | instskip(SKIP_2) | instid1(VALU_DEP_2)
	v_lshlrev_b64 v[22:23], 4, v[66:67]
	v_mov_b32_e32 v24, v69
	v_mad_u64_u32 v[66:67], null, s20, v27, 0
	v_mad_u64_u32 v[77:78], null, s21, v79, v[24:25]
	s_delay_alu instid0(VALU_DEP_4) | instskip(NEXT) | instid1(VALU_DEP_3)
	v_add_co_u32 v201, s0, v20, v22
	v_mov_b32_e32 v24, v67
	v_add_co_ci_u32_e64 v202, s0, v21, v23, s0
	v_lshlrev_b64 v[22:23], 4, v[25:26]
	v_mad_u64_u32 v[25:26], null, s20, v72, 0
	v_mov_b32_e32 v69, v77
	v_add_nc_u32_e32 v79, 0x7a8, v233
	s_delay_alu instid0(VALU_DEP_4) | instskip(NEXT) | instid1(VALU_DEP_1)
	v_add_co_u32 v203, s0, v20, v22
	v_add_co_ci_u32_e64 v204, s0, v21, v23, s0
	v_mad_u64_u32 v[77:78], null, s21, v27, v[24:25]
	v_lshlrev_b64 v[22:23], 4, v[68:69]
	v_mad_u64_u32 v[68:69], null, s20, v79, 0
	s_delay_alu instid0(VALU_DEP_3) | instskip(NEXT) | instid1(VALU_DEP_3)
	v_dual_mov_b32 v24, v26 :: v_dual_mov_b32 v67, v77
	v_add_co_u32 v205, s0, v20, v22
	s_delay_alu instid0(VALU_DEP_2) | instskip(SKIP_4) | instid1(VALU_DEP_3)
	v_mad_u64_u32 v[26:27], null, s21, v72, v[24:25]
	v_add_nc_u32_e32 v72, 0x27d, v233
	v_mov_b32_e32 v24, v69
	v_add_co_ci_u32_e64 v206, s0, v21, v23, s0
	v_lshlrev_b64 v[22:23], 4, v[66:67]
	v_mad_u64_u32 v[77:78], null, s21, v79, v[24:25]
	s_delay_alu instid0(VALU_DEP_2) | instskip(NEXT) | instid1(VALU_DEP_1)
	v_add_co_u32 v207, s0, v20, v22
	v_add_co_ci_u32_e64 v208, s0, v21, v23, s0
	v_lshlrev_b64 v[22:23], 4, v[25:26]
	s_delay_alu instid0(VALU_DEP_4) | instskip(NEXT) | instid1(VALU_DEP_2)
	v_mov_b32_e32 v69, v77
	v_add_co_u32 v209, s0, v20, v22
	s_delay_alu instid0(VALU_DEP_1) | instskip(NEXT) | instid1(VALU_DEP_3)
	v_add_co_ci_u32_e64 v210, s0, v21, v23, s0
	v_lshlrev_b64 v[22:23], 4, v[68:69]
	v_mad_u64_u32 v[68:69], null, s20, v72, 0
	v_add_nc_u32_e32 v79, 0x126, v233
	s_delay_alu instid0(VALU_DEP_3) | instskip(NEXT) | instid1(VALU_DEP_2)
	v_add_co_u32 v211, s0, v20, v22
	v_mad_u64_u32 v[25:26], null, s20, v79, 0
	v_add_nc_u32_e32 v27, 0x8ff, v233
	v_add_co_ci_u32_e64 v212, s0, v21, v23, s0
	s_delay_alu instid0(VALU_DEP_2) | instskip(NEXT) | instid1(VALU_DEP_1)
	v_mad_u64_u32 v[66:67], null, s20, v27, 0
	v_mov_b32_e32 v24, v67
	s_delay_alu instid0(VALU_DEP_1) | instskip(SKIP_1) | instid1(VALU_DEP_1)
	v_mad_u64_u32 v[77:78], null, s21, v27, v[24:25]
	v_mov_b32_e32 v24, v26
	v_mad_u64_u32 v[26:27], null, s21, v79, v[24:25]
	s_delay_alu instid0(VALU_DEP_3) | instskip(SKIP_2) | instid1(VALU_DEP_3)
	v_mov_b32_e32 v67, v77
	v_dual_mov_b32 v24, v69 :: v_dual_add_nc_u32 v27, 0x3d4, v233
	v_mov_b32_e32 v255, v79
	v_lshlrev_b64 v[22:23], 4, v[66:67]
	s_delay_alu instid0(VALU_DEP_3) | instskip(NEXT) | instid1(VALU_DEP_4)
	v_mad_u64_u32 v[66:67], null, s20, v27, 0
	v_mad_u64_u32 v[77:78], null, s21, v72, v[24:25]
	v_add_nc_u32_e32 v72, 0x52b, v233
	s_delay_alu instid0(VALU_DEP_4) | instskip(NEXT) | instid1(VALU_DEP_1)
	v_add_co_u32 v213, s0, v20, v22
	v_add_co_ci_u32_e64 v214, s0, v21, v23, s0
	v_lshlrev_b64 v[23:24], 4, v[25:26]
	v_mov_b32_e32 v22, v67
	v_mad_u64_u32 v[25:26], null, s20, v72, 0
	v_mov_b32_e32 v69, v77
	s_delay_alu instid0(VALU_DEP_3) | instskip(SKIP_1) | instid1(VALU_DEP_1)
	v_mad_u64_u32 v[78:79], null, s21, v27, v[22:23]
	v_add_co_u32 v215, s0, v20, v23
	v_add_co_ci_u32_e64 v216, s0, v21, v24, s0
	v_mov_b32_e32 v24, v26
	v_lshlrev_b64 v[22:23], 4, v[68:69]
	v_mov_b32_e32 v67, v78
	v_mad_u64_u32 v[68:69], null, s20, v82, 0
	v_mad_u64_u32 v[77:78], null, s20, v84, 0
	;; [unrolled: 1-line block ×3, first 2 shown]
	v_add_nc_u32_e32 v72, 0x930, v233
	v_add_co_u32 v217, s0, v20, v22
	s_delay_alu instid0(VALU_DEP_1) | instskip(SKIP_3) | instid1(VALU_DEP_2)
	v_add_co_ci_u32_e64 v218, s0, v21, v23, s0
	v_lshlrev_b64 v[22:23], 4, v[66:67]
	v_dual_mov_b32 v24, v69 :: v_dual_mov_b32 v27, v78
	v_mad_u64_u32 v[66:67], null, s20, v72, 0
	v_mad_u64_u32 v[78:79], null, s21, v82, v[24:25]
	s_delay_alu instid0(VALU_DEP_3) | instskip(SKIP_1) | instid1(VALU_DEP_1)
	v_mad_u64_u32 v[82:83], null, s21, v84, v[27:28]
	v_add_co_u32 v219, s0, v20, v22
	v_add_co_ci_u32_e64 v220, s0, v21, v23, s0
	v_lshlrev_b64 v[23:24], 4, v[25:26]
	v_dual_mov_b32 v22, v67 :: v_dual_mov_b32 v69, v78
	v_mov_b32_e32 v78, v82
	s_delay_alu instid0(VALU_DEP_2) | instskip(SKIP_1) | instid1(VALU_DEP_4)
	v_mad_u64_u32 v[82:83], null, s21, v72, v[22:23]
	v_add_co_u32 v221, s0, v20, v23
	v_lshlrev_b64 v[22:23], 4, v[68:69]
	v_add_co_ci_u32_e64 v222, s0, v21, v24, s0
	s_clause 0x1
	global_load_b128 v[24:27], v[0:1], off
	global_load_b128 v[172:175], v[2:3], off
	v_mov_b32_e32 v67, v82
	v_lshlrev_b64 v[0:1], 4, v[77:78]
	v_add_co_u32 v223, s0, v20, v22
	s_delay_alu instid0(VALU_DEP_1) | instskip(NEXT) | instid1(VALU_DEP_4)
	v_add_co_ci_u32_e64 v224, s0, v21, v23, s0
	v_lshlrev_b64 v[2:3], 4, v[66:67]
	s_delay_alu instid0(VALU_DEP_4) | instskip(NEXT) | instid1(VALU_DEP_1)
	v_add_co_u32 v225, s0, v20, v0
	v_add_co_ci_u32_e64 v226, s0, v21, v1, s0
	s_delay_alu instid0(VALU_DEP_3) | instskip(NEXT) | instid1(VALU_DEP_1)
	v_add_co_u32 v227, s0, v20, v2
	v_add_co_ci_u32_e64 v228, s0, v21, v3, s0
	s_clause 0x13
	global_load_b128 v[184:187], v[4:5], off
	global_load_b128 v[176:179], v[6:7], off
	;; [unrolled: 1-line block ×20, first 2 shown]
	s_waitcnt vmcnt(0)
	scratch_store_b128 off, v[0:3], off offset:96 ; 16-byte Folded Spill
	s_clause 0x6
	global_load_b128 v[116:119], v[52:53], off
	global_load_b128 v[108:111], v[54:55], off
	global_load_b128 v[100:103], v[56:57], off
	global_load_b128 v[104:107], v[58:59], off
	global_load_b128 v[112:115], v[60:61], off
	global_load_b128 v[120:123], v[62:63], off
	global_load_b128 v[0:3], v[64:65], off
	s_waitcnt vmcnt(0)
	scratch_store_b128 off, v[0:3], off offset:80 ; 16-byte Folded Spill
	s_clause 0x6
	global_load_b128 v[92:95], v[70:71], off
	global_load_b128 v[84:87], v[73:74], off
	global_load_b128 v[76:79], v[75:76], off
	global_load_b128 v[80:83], v[80:81], off
	global_load_b128 v[88:91], v[88:89], off
	global_load_b128 v[96:99], v[96:97], off
	global_load_b128 v[0:3], v[201:202], off
	;; [unrolled: 10-line block ×3, first 2 shown]
	s_waitcnt vmcnt(0)
	scratch_store_b128 off, v[0:3], off offset:48 ; 16-byte Folded Spill
	s_clause 0x5
	global_load_b128 v[44:47], v[217:218], off
	global_load_b128 v[36:39], v[219:220], off
	;; [unrolled: 1-line block ×6, first 2 shown]
.LBB0_13:
	s_or_b32 exec_lo, exec_lo, s1
	v_add_f64 v[250:251], v[192:193], v[172:173]
	v_add_f64 v[236:237], v[174:175], -v[194:195]
	v_add_f64 v[234:235], v[188:189], v[184:185]
	v_add_f64 v[240:241], v[186:187], -v[190:191]
	v_add_f64 v[242:243], v[182:183], -v[178:179]
	v_add_f64 v[200:201], v[194:195], v[174:175]
	v_add_f64 v[192:193], v[172:173], -v[192:193]
	v_add_f64 v[194:195], v[190:191], v[186:187]
	v_add_f64 v[174:175], v[184:185], -v[188:189]
	v_add_f64 v[238:239], v[180:181], v[176:177]
	v_add_f64 v[190:191], v[182:183], v[178:179]
	v_add_f64 v[180:181], v[180:181], -v[176:177]
	v_add_f64 v[204:205], v[168:169], v[164:165]
	v_add_f64 v[178:179], v[170:171], v[166:167]
	v_add_f64 v[176:177], v[164:165], -v[168:169]
	v_add_f64 v[202:203], v[166:167], -v[170:171]
	v_add_f64 v[184:185], v[162:163], v[158:159]
	v_add_f64 v[206:207], v[158:159], -v[162:163]
	v_add_f64 v[212:213], v[152:153], v[148:149]
	v_add_f64 v[188:189], v[154:155], v[150:151]
	v_add_f64 v[186:187], v[152:153], -v[148:149]
	v_add_f64 v[210:211], v[154:155], -v[150:151]
	v_add_f64 v[216:217], v[144:145], v[140:141]
	v_add_f64 v[148:149], v[146:147], v[142:143]
	v_add_f64 v[0:1], v[140:141], -v[144:145]
	;; [unrolled: 4-line block ×4, first 2 shown]
	v_add_f64 v[222:223], v[130:131], -v[126:127]
	v_mov_b32_e32 v171, v229
	v_add_f64 v[228:229], v[120:121], v[116:117]
	v_add_f64 v[10:11], v[122:123], v[118:119]
	v_add_f64 v[116:117], v[116:117], -v[120:121]
	v_add_f64 v[226:227], v[118:119], -v[122:123]
	v_add_f64 v[230:231], v[112:113], v[108:109]
	v_add_f64 v[120:121], v[114:115], v[110:111]
	v_add_f64 v[118:119], v[108:109], -v[112:113]
	v_mov_b32_e32 v112, v255
	v_add_f64 v[108:109], v[110:111], -v[114:115]
	v_add_f64 v[110:111], v[104:105], v[100:101]
	v_add_f64 v[122:123], v[106:107], v[102:103]
	v_add_f64 v[114:115], v[104:105], -v[100:101]
	v_add_f64 v[100:101], v[106:107], -v[102:103]
	v_add_f64 v[102:103], v[96:97], v[92:93]
	v_add_f64 v[244:245], v[98:99], v[94:95]
	v_add_f64 v[246:247], v[92:93], -v[96:97]
	;; [unrolled: 4-line block ×7, first 2 shown]
	v_add_f64 v[52:53], v[58:59], -v[54:55]
	s_waitcnt vmcnt(0)
	v_add_f64 v[54:55], v[48:49], v[44:45]
	v_add_f64 v[164:165], v[50:51], v[46:47]
	v_add_f64 v[154:155], v[44:45], -v[48:49]
	v_add_f64 v[44:45], v[46:47], -v[50:51]
	v_add_f64 v[46:47], v[40:41], v[36:37]
	v_add_f64 v[158:159], v[42:43], v[38:39]
	v_add_f64 v[166:167], v[36:37], -v[40:41]
	v_add_f64 v[36:37], v[38:39], -v[42:43]
	v_add_f64 v[38:39], v[32:33], v[28:29]
	v_add_f64 v[162:163], v[32:33], -v[28:29]
	v_add_f64 v[32:33], v[242:243], -v[240:241]
	;; [unrolled: 1-line block ×3, first 2 shown]
	v_add_f64 v[42:43], v[234:235], v[250:251]
	s_mov_b32 s22, 0xe976ee23
	s_mov_b32 s2, 0x429ad128
	;; [unrolled: 1-line block ×4, first 2 shown]
	v_add_f64 v[168:169], v[34:35], v[30:31]
	v_add_f64 v[28:29], v[34:35], -v[30:31]
	v_add_f64 v[30:31], v[242:243], v[240:241]
	v_add_f64 v[34:35], v[236:237], -v[242:243]
	v_add_f64 v[48:49], v[250:251], -v[238:239]
	;; [unrolled: 1-line block ×3, first 2 shown]
	s_mov_b32 s10, 0xb247c609
	s_mov_b32 s18, 0x37e14327
	;; [unrolled: 1-line block ×8, first 2 shown]
	v_add_f64 v[56:57], v[234:235], -v[250:251]
	s_mov_b32 s0, 0x37c3f68c
	s_mov_b32 s20, 0xaaaaaaaa
	;; [unrolled: 1-line block ×8, first 2 shown]
	v_mad_u32_u24 v232, v233, 56, 0
	s_clause 0x1
	scratch_store_b32 off, v254, off offset:400
	scratch_store_b64 off, v[0:1], off offset:112
	v_add_f64 v[208:209], v[160:161], v[156:157]
	v_mad_i32_i24 v113, v112, 56, 0
	v_add_f64 v[182:183], v[156:157], -v[160:161]
	v_mov_b32_e32 v243, v252
	v_mul_f64 v[32:33], v[32:33], s[22:23]
	v_mul_f64 v[58:59], v[40:41], s[2:3]
	v_add_f64 v[42:43], v[238:239], v[42:43]
	v_add_f64 v[30:31], v[30:31], v[236:237]
	v_mul_f64 v[48:49], v[48:49], s[18:19]
	v_fma_f64 v[40:41], v[40:41], s[2:3], -v[32:33]
	v_fma_f64 v[32:33], v[34:35], s[10:11], v[32:33]
	v_fma_f64 v[34:35], v[34:35], s[14:15], -v[58:59]
	v_add_f64 v[24:25], v[24:25], v[42:43]
	v_mul_f64 v[58:59], v[50:51], s[24:25]
	v_fma_f64 v[50:51], v[50:51], s[24:25], v[48:49]
	v_fma_f64 v[48:49], v[56:57], s[16:17], -v[48:49]
	v_fma_f64 v[40:41], v[30:31], s[0:1], v[40:41]
	v_fma_f64 v[32:33], v[30:31], s[0:1], v[32:33]
	;; [unrolled: 1-line block ×4, first 2 shown]
	v_fma_f64 v[56:57], v[56:57], s[4:5], -v[58:59]
	s_delay_alu instid0(VALU_DEP_2) | instskip(SKIP_1) | instid1(VALU_DEP_3)
	v_add_f64 v[42:43], v[50:51], v[34:35]
	v_add_f64 v[48:49], v[48:49], v[34:35]
	;; [unrolled: 1-line block ×3, first 2 shown]
	s_delay_alu instid0(VALU_DEP_3) | instskip(NEXT) | instid1(VALU_DEP_3)
	v_add_f64 v[50:51], v[32:33], v[42:43]
	v_add_f64 v[56:57], v[30:31], v[48:49]
	s_delay_alu instid0(VALU_DEP_3)
	v_add_f64 v[58:59], v[34:35], -v[40:41]
	ds_store_2addr_b64 v232, v[24:25], v[50:51] offset1:1
	ds_store_2addr_b64 v232, v[56:57], v[58:59] offset0:2 offset1:3
	v_add_f64 v[24:25], v[40:41], v[34:35]
	v_add_f64 v[30:31], v[48:49], -v[30:31]
	v_add_f64 v[32:33], v[42:43], -v[32:33]
	;; [unrolled: 1-line block ×6, first 2 shown]
	v_add_f64 v[42:43], v[210:211], v[206:207]
	v_add_f64 v[34:35], v[208:209], -v[204:205]
	ds_store_2addr_b64 v232, v[24:25], v[30:31] offset0:4 offset1:5
	ds_store_b64 v232, v[32:33] offset:48
	v_add_f64 v[24:25], v[208:209], v[204:205]
	v_add_f64 v[30:31], v[204:205], -v[212:213]
	v_mul_f64 v[48:49], v[48:49], s[22:23]
	v_mul_f64 v[58:59], v[50:51], s[2:3]
	v_add_f64 v[42:43], v[42:43], v[202:203]
	v_mad_i32_i24 v202, v254, 56, 0
	v_mad_i32_i24 v203, v252, 56, 0
	v_add_f64 v[24:25], v[212:213], v[24:25]
	v_mul_f64 v[30:31], v[30:31], s[18:19]
	v_fma_f64 v[50:51], v[50:51], s[2:3], -v[48:49]
	v_fma_f64 v[48:49], v[56:57], s[10:11], v[48:49]
	v_fma_f64 v[56:57], v[56:57], s[14:15], -v[58:59]
	v_mul_f64 v[58:59], v[40:41], s[24:25]
	v_add_f64 v[20:21], v[20:21], v[24:25]
	v_fma_f64 v[40:41], v[40:41], s[24:25], v[30:31]
	v_fma_f64 v[30:31], v[34:35], s[16:17], -v[30:31]
	s_delay_alu instid0(VALU_DEP_4) | instskip(SKIP_4) | instid1(VALU_DEP_1)
	v_fma_f64 v[58:59], v[34:35], s[4:5], -v[58:59]
	v_fma_f64 v[34:35], v[42:43], s[0:1], v[48:49]
	v_fma_f64 v[48:49], v[42:43], s[0:1], v[50:51]
	;; [unrolled: 1-line block ×4, first 2 shown]
	v_add_f64 v[40:41], v[40:41], v[24:25]
	v_add_f64 v[50:51], v[58:59], v[24:25]
	;; [unrolled: 1-line block ×3, first 2 shown]
	s_delay_alu instid0(VALU_DEP_3) | instskip(NEXT) | instid1(VALU_DEP_3)
	v_add_f64 v[30:31], v[34:35], v[40:41]
	v_add_f64 v[32:33], v[50:51], -v[48:49]
	s_delay_alu instid0(VALU_DEP_3)
	v_add_f64 v[56:57], v[42:43], v[24:25]
	ds_store_2addr_b64 v202, v[20:21], v[30:31] offset1:1
	ds_store_2addr_b64 v202, v[56:57], v[32:33] offset0:2 offset1:3
	v_add_f64 v[20:21], v[48:49], v[50:51]
	v_add_f64 v[24:25], v[24:25], -v[42:43]
	v_add_f64 v[30:31], v[40:41], -v[34:35]
	;; [unrolled: 1-line block ×6, first 2 shown]
	v_add_f64 v[40:41], v[222:223], v[218:219]
	v_add_f64 v[32:33], v[220:221], -v[216:217]
	ds_store_2addr_b64 v202, v[20:21], v[24:25] offset0:4 offset1:5
	ds_store_b64 v202, v[30:31] offset:48
	v_add_f64 v[20:21], v[220:221], v[216:217]
	v_add_f64 v[24:25], v[216:217], -v[224:225]
	v_mul_f64 v[42:43], v[42:43], s[22:23]
	v_mul_f64 v[56:57], v[48:49], s[2:3]
	v_add_f64 v[40:41], v[40:41], v[214:215]
	v_add_f64 v[20:21], v[224:225], v[20:21]
	v_mul_f64 v[24:25], v[24:25], s[18:19]
	v_fma_f64 v[48:49], v[48:49], s[2:3], -v[42:43]
	v_fma_f64 v[42:43], v[50:51], s[10:11], v[42:43]
	v_fma_f64 v[50:51], v[50:51], s[14:15], -v[56:57]
	v_mul_f64 v[56:57], v[34:35], s[24:25]
	v_add_f64 v[16:17], v[16:17], v[20:21]
	v_fma_f64 v[34:35], v[34:35], s[24:25], v[24:25]
	v_fma_f64 v[24:25], v[32:33], s[16:17], -v[24:25]
	s_delay_alu instid0(VALU_DEP_4) | instskip(SKIP_4) | instid1(VALU_DEP_1)
	v_fma_f64 v[56:57], v[32:33], s[4:5], -v[56:57]
	v_fma_f64 v[32:33], v[40:41], s[0:1], v[42:43]
	v_fma_f64 v[42:43], v[40:41], s[0:1], v[48:49]
	;; [unrolled: 1-line block ×4, first 2 shown]
	v_add_f64 v[34:35], v[34:35], v[20:21]
	v_add_f64 v[48:49], v[56:57], v[20:21]
	;; [unrolled: 1-line block ×3, first 2 shown]
	s_delay_alu instid0(VALU_DEP_3) | instskip(NEXT) | instid1(VALU_DEP_3)
	v_add_f64 v[24:25], v[32:33], v[34:35]
	v_add_f64 v[30:31], v[48:49], -v[42:43]
	s_delay_alu instid0(VALU_DEP_3)
	v_add_f64 v[50:51], v[40:41], v[20:21]
	ds_store_2addr_b64 v203, v[16:17], v[24:25] offset1:1
	ds_store_2addr_b64 v203, v[50:51], v[30:31] offset0:2 offset1:3
	s_clause 0x1
	scratch_load_b128 v[218:221], off, off offset:96
	scratch_load_b32 v150, off, off offset:24
	v_add_f64 v[16:17], v[42:43], v[48:49]
	v_add_f64 v[20:21], v[20:21], -v[40:41]
	v_add_f64 v[24:25], v[34:35], -v[32:33]
	;; [unrolled: 1-line block ×6, first 2 shown]
	v_add_f64 v[34:35], v[100:101], v[108:109]
	v_add_f64 v[30:31], v[230:231], -v[228:229]
	v_lshl_add_u32 v108, v233, 3, 0
	ds_store_2addr_b64 v203, v[16:17], v[20:21] offset0:4 offset1:5
	ds_store_b64 v203, v[24:25] offset:48
	v_add_f64 v[16:17], v[230:231], v[228:229]
	v_add_f64 v[20:21], v[228:229], -v[110:111]
	v_mul_f64 v[40:41], v[40:41], s[22:23]
	v_mul_f64 v[50:51], v[42:43], s[2:3]
	v_add_f64 v[34:35], v[34:35], v[226:227]
	v_add_f64 v[16:17], v[110:111], v[16:17]
	v_mul_f64 v[20:21], v[20:21], s[18:19]
	v_fma_f64 v[42:43], v[42:43], s[2:3], -v[40:41]
	v_fma_f64 v[40:41], v[48:49], s[10:11], v[40:41]
	v_fma_f64 v[48:49], v[48:49], s[14:15], -v[50:51]
	v_mul_f64 v[50:51], v[32:33], s[24:25]
	v_mad_i32_i24 v111, v253, 56, 0
	v_fma_f64 v[32:33], v[32:33], s[24:25], v[20:21]
	v_fma_f64 v[20:21], v[30:31], s[16:17], -v[20:21]
	s_delay_alu instid0(VALU_DEP_4)
	v_fma_f64 v[50:51], v[30:31], s[4:5], -v[50:51]
	v_fma_f64 v[30:31], v[34:35], s[0:1], v[40:41]
	v_fma_f64 v[40:41], v[34:35], s[0:1], v[42:43]
	;; [unrolled: 1-line block ×3, first 2 shown]
	s_waitcnt vmcnt(1)
	v_add_f64 v[12:13], v[218:219], v[16:17]
	s_waitcnt vmcnt(0)
	v_mad_i32_i24 v109, v150, 56, 0
	s_delay_alu instid0(VALU_DEP_2) | instskip(NEXT) | instid1(VALU_DEP_1)
	v_fma_f64 v[16:17], v[16:17], s[20:21], v[12:13]
	v_add_f64 v[32:33], v[32:33], v[16:17]
	v_add_f64 v[42:43], v[50:51], v[16:17]
	;; [unrolled: 1-line block ×3, first 2 shown]
	s_delay_alu instid0(VALU_DEP_3) | instskip(NEXT) | instid1(VALU_DEP_3)
	v_add_f64 v[20:21], v[30:31], v[32:33]
	v_add_f64 v[24:25], v[42:43], -v[40:41]
	s_delay_alu instid0(VALU_DEP_3)
	v_add_f64 v[48:49], v[34:35], v[16:17]
	ds_store_2addr_b64 v109, v[12:13], v[20:21] offset1:1
	ds_store_2addr_b64 v109, v[48:49], v[24:25] offset0:2 offset1:3
	scratch_load_b128 v[216:219], off, off offset:80 ; 16-byte Folded Reload
	v_add_f64 v[12:13], v[40:41], v[42:43]
	v_add_f64 v[16:17], v[16:17], -v[34:35]
	v_add_f64 v[20:21], v[32:33], -v[30:31]
	;; [unrolled: 1-line block ×6, first 2 shown]
	v_add_f64 v[32:33], v[76:77], v[84:85]
	v_add_f64 v[40:41], v[92:93], -v[76:77]
	ds_store_2addr_b64 v109, v[12:13], v[16:17] offset0:4 offset1:5
	ds_store_b64 v109, v[20:21] offset:48
	v_add_f64 v[12:13], v[94:95], v[102:103]
	v_add_f64 v[16:17], v[102:103], -v[86:87]
	v_mul_f64 v[48:49], v[30:31], s[24:25]
	v_add_f64 v[32:33], v[32:33], v[92:93]
	s_delay_alu instid0(VALU_DEP_4) | instskip(NEXT) | instid1(VALU_DEP_4)
	v_add_f64 v[12:13], v[86:87], v[12:13]
	v_mul_f64 v[16:17], v[16:17], s[18:19]
	s_delay_alu instid0(VALU_DEP_4) | instskip(NEXT) | instid1(VALU_DEP_2)
	v_fma_f64 v[48:49], v[24:25], s[4:5], -v[48:49]
	v_fma_f64 v[30:31], v[30:31], s[24:25], v[16:17]
	v_fma_f64 v[16:17], v[24:25], s[16:17], -v[16:17]
	v_mul_f64 v[24:25], v[34:35], s[22:23]
	v_mul_f64 v[34:35], v[42:43], s[2:3]
	s_delay_alu instid0(VALU_DEP_2) | instskip(SKIP_1) | instid1(VALU_DEP_3)
	v_fma_f64 v[42:43], v[42:43], s[2:3], -v[24:25]
	v_fma_f64 v[24:25], v[40:41], s[10:11], v[24:25]
	v_fma_f64 v[34:35], v[40:41], s[14:15], -v[34:35]
	s_waitcnt vmcnt(0)
	v_add_f64 v[8:9], v[216:217], v[12:13]
	s_delay_alu instid0(VALU_DEP_1) | instskip(NEXT) | instid1(VALU_DEP_1)
	v_fma_f64 v[12:13], v[12:13], s[20:21], v[8:9]
	v_add_f64 v[30:31], v[30:31], v[12:13]
	v_add_f64 v[40:41], v[48:49], v[12:13]
	;; [unrolled: 1-line block ×3, first 2 shown]
	v_fma_f64 v[16:17], v[32:33], s[0:1], v[24:25]
	v_fma_f64 v[24:25], v[32:33], s[0:1], v[42:43]
	;; [unrolled: 1-line block ×3, first 2 shown]
	s_delay_alu instid0(VALU_DEP_3) | instskip(NEXT) | instid1(VALU_DEP_3)
	v_add_f64 v[20:21], v[16:17], v[30:31]
	v_add_f64 v[34:35], v[40:41], -v[24:25]
	s_delay_alu instid0(VALU_DEP_3)
	v_add_f64 v[42:43], v[32:33], v[12:13]
	ds_store_2addr_b64 v111, v[8:9], v[20:21] offset1:1
	ds_store_2addr_b64 v111, v[42:43], v[34:35] offset0:2 offset1:3
	scratch_load_b128 v[210:213], off, off offset:64 ; 16-byte Folded Reload
	v_add_f64 v[8:9], v[24:25], v[40:41]
	v_add_f64 v[12:13], v[12:13], -v[32:33]
	v_add_f64 v[16:17], v[30:31], -v[16:17]
	;; [unrolled: 1-line block ×7, first 2 shown]
	v_add_f64 v[30:31], v[52:53], v[60:61]
	ds_store_2addr_b64 v111, v[8:9], v[12:13] offset0:4 offset1:5
	ds_store_b64 v111, v[16:17] offset:48
	v_add_f64 v[12:13], v[78:79], -v[62:63]
	v_add_f64 v[8:9], v[70:71], v[78:79]
	v_mul_f64 v[42:43], v[20:21], s[24:25]
	v_add_f64 v[30:31], v[30:31], v[68:69]
	s_delay_alu instid0(VALU_DEP_4) | instskip(NEXT) | instid1(VALU_DEP_4)
	v_mul_f64 v[12:13], v[12:13], s[18:19]
	v_add_f64 v[8:9], v[62:63], v[8:9]
	s_delay_alu instid0(VALU_DEP_4) | instskip(NEXT) | instid1(VALU_DEP_3)
	v_fma_f64 v[42:43], v[24:25], s[4:5], -v[42:43]
	v_fma_f64 v[20:21], v[20:21], s[24:25], v[12:13]
	v_fma_f64 v[12:13], v[24:25], s[16:17], -v[12:13]
	v_mul_f64 v[24:25], v[32:33], s[22:23]
	v_mul_f64 v[32:33], v[40:41], s[2:3]
	s_delay_alu instid0(VALU_DEP_2) | instskip(SKIP_1) | instid1(VALU_DEP_3)
	v_fma_f64 v[40:41], v[40:41], s[2:3], -v[24:25]
	v_fma_f64 v[24:25], v[34:35], s[10:11], v[24:25]
	v_fma_f64 v[32:33], v[34:35], s[14:15], -v[32:33]
	s_delay_alu instid0(VALU_DEP_3) | instskip(NEXT) | instid1(VALU_DEP_3)
	v_fma_f64 v[40:41], v[30:31], s[0:1], v[40:41]
	v_fma_f64 v[24:25], v[30:31], s[0:1], v[24:25]
	s_delay_alu instid0(VALU_DEP_3) | instskip(SKIP_2) | instid1(VALU_DEP_1)
	v_fma_f64 v[30:31], v[30:31], s[0:1], v[32:33]
	s_waitcnt vmcnt(0)
	v_add_f64 v[34:35], v[210:211], v[8:9]
	v_fma_f64 v[4:5], v[8:9], s[20:21], v[34:35]
	s_delay_alu instid0(VALU_DEP_1) | instskip(SKIP_3) | instid1(VALU_DEP_4)
	v_add_f64 v[8:9], v[20:21], v[4:5]
	v_add_f64 v[20:21], v[42:43], v[4:5]
	;; [unrolled: 1-line block ×3, first 2 shown]
	v_mad_i32_i24 v4, v171, 56, 0
	v_add_f64 v[16:17], v[24:25], v[8:9]
	s_delay_alu instid0(VALU_DEP_4) | instskip(NEXT) | instid1(VALU_DEP_4)
	v_add_f64 v[32:33], v[20:21], -v[40:41]
	v_add_f64 v[42:43], v[30:31], v[12:13]
	ds_store_2addr_b64 v4, v[34:35], v[16:17] offset1:1
	ds_store_2addr_b64 v4, v[42:43], v[32:33] offset0:2 offset1:3
	scratch_load_b128 v[208:211], off, off offset:48 ; 16-byte Folded Reload
	v_add_f64 v[16:17], v[40:41], v[20:21]
	v_add_f64 v[12:13], v[12:13], -v[30:31]
	v_add_f64 v[8:9], v[8:9], -v[24:25]
	;; [unrolled: 1-line block ×4, first 2 shown]
	v_add_f64 v[30:31], v[28:29], v[36:37]
	v_add_f64 v[32:33], v[28:29], -v[36:37]
	v_add_f64 v[34:35], v[36:37], -v[44:45]
	;; [unrolled: 1-line block ×3, first 2 shown]
	ds_store_2addr_b64 v4, v[16:17], v[12:13] offset0:4 offset1:5
	ds_store_b64 v4, v[8:9] offset:48
	v_add_f64 v[12:13], v[46:47], v[54:55]
	v_add_f64 v[16:17], v[54:55], -v[38:39]
	v_mul_f64 v[36:37], v[20:21], s[24:25]
	v_add_f64 v[30:31], v[30:31], v[44:45]
	s_delay_alu instid0(VALU_DEP_4) | instskip(NEXT) | instid1(VALU_DEP_4)
	v_add_f64 v[12:13], v[38:39], v[12:13]
	v_mul_f64 v[16:17], v[16:17], s[18:19]
	s_delay_alu instid0(VALU_DEP_4) | instskip(SKIP_2) | instid1(VALU_DEP_1)
	v_fma_f64 v[36:37], v[24:25], s[4:5], -v[36:37]
	v_add_nc_u32_e32 v39, 0x1800, v108
	v_add_nc_u32_e32 v38, 0x4000, v108
	v_dual_mov_b32 v138, v39 :: v_dual_mov_b32 v153, v38
	v_fma_f64 v[20:21], v[20:21], s[24:25], v[16:17]
	v_fma_f64 v[16:17], v[24:25], s[16:17], -v[16:17]
	v_mul_f64 v[24:25], v[32:33], s[22:23]
	v_mul_f64 v[32:33], v[34:35], s[2:3]
	s_delay_alu instid0(VALU_DEP_2) | instskip(SKIP_1) | instid1(VALU_DEP_3)
	v_fma_f64 v[34:35], v[34:35], s[2:3], -v[24:25]
	v_fma_f64 v[24:25], v[28:29], s[10:11], v[24:25]
	v_fma_f64 v[28:29], v[28:29], s[14:15], -v[32:33]
	s_delay_alu instid0(VALU_DEP_1) | instskip(SKIP_2) | instid1(VALU_DEP_1)
	v_fma_f64 v[28:29], v[30:31], s[0:1], v[28:29]
	s_waitcnt vmcnt(0)
	v_add_f64 v[0:1], v[208:209], v[12:13]
	v_fma_f64 v[12:13], v[12:13], s[20:21], v[0:1]
	s_delay_alu instid0(VALU_DEP_1)
	v_add_f64 v[20:21], v[20:21], v[12:13]
	v_add_f64 v[32:33], v[36:37], v[12:13]
	;; [unrolled: 1-line block ×3, first 2 shown]
	v_fma_f64 v[16:17], v[30:31], s[0:1], v[24:25]
	v_fma_f64 v[24:25], v[30:31], s[0:1], v[34:35]
	v_add_nc_u32_e32 v37, 0x3800, v108
	v_add_nc_u32_e32 v36, 0x3c00, v108
	s_delay_alu instid0(VALU_DEP_2) | instskip(NEXT) | instid1(VALU_DEP_2)
	v_dual_mov_b32 v157, v37 :: v_dual_add_nc_u32 v242, 0x1000, v108
	v_mov_b32_e32 v215, v36
	v_add_f64 v[34:35], v[28:29], v[12:13]
	v_add_f64 v[8:9], v[16:17], v[20:21]
	v_add_f64 v[30:31], v[32:33], -v[24:25]
	ds_store_2addr_b64 v113, v[0:1], v[8:9] offset1:1
	ds_store_2addr_b64 v113, v[34:35], v[30:31] offset0:2 offset1:3
	v_add_f64 v[0:1], v[24:25], v[32:33]
	v_add_f64 v[8:9], v[12:13], -v[28:29]
	v_add_f64 v[12:13], v[20:21], -v[16:17]
	;; [unrolled: 1-line block ×5, first 2 shown]
	v_add_f64 v[20:21], v[180:181], v[174:175]
	s_load_b64 s[26:27], s[26:27], 0x0
	ds_store_2addr_b64 v113, v[0:1], v[8:9] offset0:4 offset1:5
	ds_store_b64 v113, v[12:13] offset:48
	v_add_f64 v[0:1], v[194:195], v[200:201]
	v_add_f64 v[8:9], v[200:201], -v[190:191]
	v_add_f64 v[12:13], v[190:191], -v[194:195]
	v_add_f64 v[20:21], v[20:21], v[192:193]
	s_waitcnt lgkmcnt(0)
	s_waitcnt_vscnt null, 0x0
	s_barrier
	buffer_gl0_inv
	v_add_f64 v[0:1], v[190:191], v[0:1]
	v_mul_f64 v[8:9], v[8:9], s[18:19]
	v_mul_f64 v[30:31], v[12:13], s[24:25]
	s_delay_alu instid0(VALU_DEP_3) | instskip(SKIP_1) | instid1(VALU_DEP_4)
	v_add_f64 v[124:125], v[26:27], v[0:1]
	v_add_f64 v[26:27], v[192:193], -v[180:181]
	v_fma_f64 v[12:13], v[12:13], s[24:25], v[8:9]
	s_delay_alu instid0(VALU_DEP_4) | instskip(SKIP_4) | instid1(VALU_DEP_2)
	v_fma_f64 v[30:31], v[16:17], s[4:5], -v[30:31]
	v_fma_f64 v[8:9], v[16:17], s[16:17], -v[8:9]
	v_mul_f64 v[16:17], v[24:25], s[22:23]
	v_mul_f64 v[24:25], v[28:29], s[2:3]
	v_fma_f64 v[0:1], v[0:1], s[20:21], v[124:125]
	v_fma_f64 v[24:25], v[26:27], s[14:15], -v[24:25]
	s_delay_alu instid0(VALU_DEP_4) | instskip(SKIP_4) | instid1(VALU_DEP_2)
	v_fma_f64 v[26:27], v[26:27], s[10:11], v[16:17]
	v_fma_f64 v[16:17], v[28:29], s[2:3], -v[16:17]
	v_add_nc_u32_e32 v28, 0x1400, v108
	v_add_nc_u32_e32 v29, 0x2c00, v108
	;; [unrolled: 1-line block ×3, first 2 shown]
	v_dual_mov_b32 v147, v28 :: v_dual_mov_b32 v152, v29
	v_add_nc_u32_e32 v214, 0x4400, v108
	v_add_f64 v[134:135], v[12:13], v[0:1]
	v_add_f64 v[174:175], v[30:31], v[0:1]
	;; [unrolled: 1-line block ×3, first 2 shown]
	v_lshl_add_u32 v8, v254, 3, 0
	v_lshl_add_u32 v13, v253, 3, 0
	v_add_nc_u32_e32 v12, 0x2800, v108
	v_fma_f64 v[190:191], v[20:21], s[0:1], v[24:25]
	v_fma_f64 v[180:181], v[20:21], s[0:1], v[26:27]
	;; [unrolled: 1-line block ×3, first 2 shown]
	v_lshl_add_u32 v20, v171, 3, 0
	v_mad_i32_i24 v21, 0xffffffd0, v112, v113
	v_lshl_add_u32 v16, v252, 3, 0
	s_clause 0x3
	scratch_store_b32 off, v8, off
	scratch_store_b32 off, v13, off offset:4
	scratch_store_b32 off, v20, off offset:20
	;; [unrolled: 1-line block ×3, first 2 shown]
	ds_load_b64 v[226:227], v108
	ds_load_b64 v[234:235], v8
	;; [unrolled: 1-line block ×3, first 2 shown]
	v_lshl_add_u32 v17, v150, 3, 0
	ds_load_b64 v[30:31], v20
	ds_load_b64 v[24:25], v21
	v_dual_mov_b32 v255, v16 :: v_dual_add_nc_u32 v160, 0x800, v108
	v_dual_mov_b32 v16, v12 :: v_dual_add_nc_u32 v161, 0x2000, v108
	s_waitcnt lgkmcnt(2)
	scratch_store_b64 off, v[8:9], off offset:220 ; 8-byte Folded Spill
	ds_load_b64 v[8:9], v17
	s_waitcnt lgkmcnt(2)
	scratch_store_b64 off, v[30:31], off offset:156 ; 8-byte Folded Spill
	s_waitcnt lgkmcnt(1)
	scratch_store_b64 off, v[24:25], off offset:148 ; 8-byte Folded Spill
	v_add_f64 v[204:205], v[0:1], -v[190:191]
	v_add_f64 v[194:195], v[134:135], -v[180:181]
	v_add_f64 v[206:207], v[192:193], v[174:175]
	v_add_f64 v[0:1], v[190:191], v[0:1]
	;; [unrolled: 1-line block ×3, first 2 shown]
	v_add_f64 v[180:181], v[186:187], -v[182:183]
	s_waitcnt lgkmcnt(0)
	scratch_store_b64 off, v[8:9], off offset:212 ; 8-byte Folded Spill
	ds_load_b64 v[8:9], v13
	s_waitcnt lgkmcnt(0)
	scratch_store_b64 off, v[8:9], off offset:196 ; 8-byte Folded Spill
	ds_load_2addr_b64 v[104:107], v160 offset0:87 offset1:136
	ds_load_2addr_b64 v[40:43], v242 offset0:125 offset1:174
	;; [unrolled: 1-line block ×21, first 2 shown]
	s_waitcnt lgkmcnt(0)
	s_waitcnt_vscnt null, 0x0
	s_barrier
	buffer_gl0_inv
	ds_store_2addr_b64 v232, v[124:125], v[194:195] offset1:1
	ds_store_2addr_b64 v232, v[204:205], v[206:207] offset0:2 offset1:3
	v_add_f64 v[124:125], v[174:175], -v[192:193]
	ds_store_2addr_b64 v232, v[124:125], v[0:1] offset0:4 offset1:5
	ds_store_b64 v232, v[134:135] offset:48
	v_add_f64 v[0:1], v[184:185], v[178:179]
	v_add_f64 v[124:125], v[178:179], -v[188:189]
	v_add_f64 v[134:135], v[188:189], -v[184:185]
	;; [unrolled: 1-line block ×3, first 2 shown]
	v_add_f64 v[178:179], v[186:187], v[182:183]
	v_add_f64 v[184:185], v[176:177], -v[186:187]
	v_mov_b32_e32 v232, v253
	v_add_f64 v[0:1], v[188:189], v[0:1]
	v_mul_f64 v[124:125], v[124:125], s[18:19]
	v_add_f64 v[178:179], v[178:179], v[176:177]
	v_add_f64 v[176:177], v[182:183], -v[176:177]
	v_mul_f64 v[182:183], v[134:135], s[24:25]
	v_add_f64 v[22:23], v[22:23], v[0:1]
	v_fma_f64 v[134:135], v[134:135], s[24:25], v[124:125]
	v_fma_f64 v[124:125], v[174:175], s[16:17], -v[124:125]
	s_delay_alu instid0(VALU_DEP_4) | instskip(SKIP_3) | instid1(VALU_DEP_2)
	v_fma_f64 v[182:183], v[174:175], s[4:5], -v[182:183]
	v_mul_f64 v[174:175], v[180:181], s[22:23]
	v_mul_f64 v[180:181], v[176:177], s[2:3]
	v_fma_f64 v[0:1], v[0:1], s[20:21], v[22:23]
	v_fma_f64 v[180:181], v[184:185], s[14:15], -v[180:181]
	s_delay_alu instid0(VALU_DEP_4) | instskip(SKIP_1) | instid1(VALU_DEP_4)
	v_fma_f64 v[184:185], v[184:185], s[10:11], v[174:175]
	v_fma_f64 v[174:175], v[176:177], s[2:3], -v[174:175]
	v_add_f64 v[134:135], v[134:135], v[0:1]
	v_add_f64 v[176:177], v[182:183], v[0:1]
	v_add_f64 v[0:1], v[124:125], v[0:1]
	v_fma_f64 v[180:181], v[178:179], s[0:1], v[180:181]
	v_fma_f64 v[124:125], v[178:179], s[0:1], v[184:185]
	;; [unrolled: 1-line block ×3, first 2 shown]
	s_delay_alu instid0(VALU_DEP_3) | instskip(NEXT) | instid1(VALU_DEP_3)
	v_add_f64 v[182:183], v[0:1], -v[180:181]
	v_add_f64 v[178:179], v[134:135], -v[124:125]
	s_delay_alu instid0(VALU_DEP_3)
	v_add_f64 v[184:185], v[174:175], v[176:177]
	ds_store_2addr_b64 v202, v[22:23], v[178:179] offset1:1
	ds_store_2addr_b64 v202, v[182:183], v[184:185] offset0:2 offset1:3
	v_add_f64 v[22:23], v[176:177], -v[174:175]
	v_add_f64 v[0:1], v[180:181], v[0:1]
	v_add_f64 v[124:125], v[124:125], v[134:135]
	ds_store_2addr_b64 v202, v[22:23], v[0:1] offset0:4 offset1:5
	ds_store_b64 v202, v[124:125] offset:48
	scratch_load_b64 v[174:175], off, off offset:112 ; 8-byte Folded Reload
	v_add_f64 v[0:1], v[141:142], v[148:149]
	v_add_f64 v[22:23], v[148:149], -v[132:133]
	v_add_f64 v[124:125], v[132:133], -v[141:142]
	v_add_f64 v[134:135], v[14:15], v[248:249]
	s_delay_alu instid0(VALU_DEP_4)
	v_add_f64 v[0:1], v[132:133], v[0:1]
	v_add_f64 v[132:133], v[141:142], -v[148:149]
	v_add_f64 v[141:142], v[14:15], -v[248:249]
	v_mul_f64 v[22:23], v[22:23], s[18:19]
	v_mul_f64 v[176:177], v[124:125], s[24:25]
	v_add_f64 v[18:19], v[18:19], v[0:1]
	s_delay_alu instid0(VALU_DEP_3) | instskip(NEXT) | instid1(VALU_DEP_3)
	v_fma_f64 v[124:125], v[124:125], s[24:25], v[22:23]
	v_fma_f64 v[176:177], v[132:133], s[4:5], -v[176:177]
	v_fma_f64 v[22:23], v[132:133], s[16:17], -v[22:23]
	v_mul_f64 v[132:133], v[141:142], s[22:23]
	v_fma_f64 v[0:1], v[0:1], s[20:21], v[18:19]
	s_delay_alu instid0(VALU_DEP_1) | instskip(SKIP_4) | instid1(VALU_DEP_1)
	v_add_f64 v[124:125], v[124:125], v[0:1]
	s_waitcnt vmcnt(0)
	v_add_f64 v[148:149], v[174:175], -v[14:15]
	v_add_f64 v[134:135], v[134:135], v[174:175]
	v_add_f64 v[174:175], v[248:249], -v[174:175]
	v_mul_f64 v[141:142], v[174:175], s[2:3]
	v_fma_f64 v[174:175], v[174:175], s[2:3], -v[132:133]
	v_fma_f64 v[132:133], v[148:149], s[10:11], v[132:133]
	s_delay_alu instid0(VALU_DEP_3) | instskip(SKIP_2) | instid1(VALU_DEP_4)
	v_fma_f64 v[141:142], v[148:149], s[14:15], -v[141:142]
	v_add_f64 v[148:149], v[176:177], v[0:1]
	v_add_f64 v[0:1], v[22:23], v[0:1]
	v_fma_f64 v[22:23], v[134:135], s[0:1], v[132:133]
	v_fma_f64 v[132:133], v[134:135], s[0:1], v[174:175]
	;; [unrolled: 1-line block ×3, first 2 shown]
	s_delay_alu instid0(VALU_DEP_3) | instskip(NEXT) | instid1(VALU_DEP_3)
	v_add_f64 v[141:142], v[124:125], -v[22:23]
	v_add_f64 v[174:175], v[132:133], v[148:149]
	v_add_f64 v[22:23], v[22:23], v[124:125]
	v_add_f64 v[124:125], v[114:115], -v[118:119]
	v_add_f64 v[176:177], v[0:1], -v[134:135]
	ds_store_2addr_b64 v203, v[18:19], v[141:142] offset1:1
	ds_store_2addr_b64 v203, v[176:177], v[174:175] offset0:2 offset1:3
	v_add_f64 v[18:19], v[148:149], -v[132:133]
	v_add_f64 v[0:1], v[134:135], v[0:1]
	ds_store_2addr_b64 v203, v[18:19], v[0:1] offset0:4 offset1:5
	ds_store_b64 v203, v[22:23] offset:48
	v_add_f64 v[0:1], v[120:121], v[10:11]
	v_add_f64 v[18:19], v[10:11], -v[122:123]
	v_add_f64 v[22:23], v[122:123], -v[120:121]
	;; [unrolled: 1-line block ×3, first 2 shown]
	s_delay_alu instid0(VALU_DEP_4) | instskip(SKIP_3) | instid1(VALU_DEP_4)
	v_add_f64 v[0:1], v[122:123], v[0:1]
	v_add_f64 v[122:123], v[114:115], v[118:119]
	v_add_f64 v[114:115], v[116:117], -v[114:115]
	v_mul_f64 v[18:19], v[18:19], s[18:19]
	v_add_f64 v[14:15], v[220:221], v[0:1]
	s_delay_alu instid0(VALU_DEP_4)
	v_add_f64 v[122:123], v[122:123], v[116:117]
	v_add_f64 v[116:117], v[118:119], -v[116:117]
	v_mul_f64 v[118:119], v[22:23], s[24:25]
	v_fma_f64 v[22:23], v[22:23], s[24:25], v[18:19]
	v_fma_f64 v[18:19], v[120:121], s[16:17], -v[18:19]
	v_fma_f64 v[0:1], v[0:1], s[20:21], v[14:15]
	s_delay_alu instid0(VALU_DEP_4) | instskip(SKIP_2) | instid1(VALU_DEP_4)
	v_fma_f64 v[118:119], v[120:121], s[4:5], -v[118:119]
	v_mul_f64 v[120:121], v[124:125], s[22:23]
	v_mul_f64 v[124:125], v[116:117], s[2:3]
	v_add_f64 v[22:23], v[22:23], v[0:1]
	s_delay_alu instid0(VALU_DEP_4) | instskip(NEXT) | instid1(VALU_DEP_4)
	v_add_f64 v[118:119], v[118:119], v[0:1]
	v_fma_f64 v[116:117], v[116:117], s[2:3], -v[120:121]
	v_fma_f64 v[120:121], v[114:115], s[10:11], v[120:121]
	v_fma_f64 v[114:115], v[114:115], s[14:15], -v[124:125]
	v_add_f64 v[0:1], v[18:19], v[0:1]
	s_delay_alu instid0(VALU_DEP_4) | instskip(NEXT) | instid1(VALU_DEP_4)
	v_fma_f64 v[116:117], v[122:123], s[0:1], v[116:117]
	v_fma_f64 v[18:19], v[122:123], s[0:1], v[120:121]
	s_delay_alu instid0(VALU_DEP_4) | instskip(NEXT) | instid1(VALU_DEP_3)
	v_fma_f64 v[114:115], v[122:123], s[0:1], v[114:115]
	v_add_f64 v[122:123], v[116:117], v[118:119]
	s_delay_alu instid0(VALU_DEP_3) | instskip(NEXT) | instid1(VALU_DEP_3)
	v_add_f64 v[120:121], v[22:23], -v[18:19]
	v_add_f64 v[124:125], v[0:1], -v[114:115]
	ds_store_2addr_b64 v109, v[14:15], v[120:121] offset1:1
	ds_store_2addr_b64 v109, v[124:125], v[122:123] offset0:2 offset1:3
	v_add_f64 v[14:15], v[118:119], -v[116:117]
	v_add_f64 v[0:1], v[114:115], v[0:1]
	v_add_f64 v[18:19], v[18:19], v[22:23]
	ds_store_2addr_b64 v109, v[14:15], v[0:1] offset0:4 offset1:5
	ds_store_b64 v109, v[18:19] offset:48
	v_add_f64 v[0:1], v[139:140], v[244:245]
	v_add_f64 v[14:15], v[244:245], -v[6:7]
	v_add_f64 v[18:19], v[6:7], -v[139:140]
	v_add_f64 v[22:23], v[139:140], -v[244:245]
	v_add_f64 v[114:115], v[136:137], -v[143:144]
	v_add_f64 v[118:119], v[143:144], -v[246:247]
	v_add_f64 v[109:110], v[136:137], v[143:144]
	v_add_f64 v[116:117], v[246:247], -v[136:137]
	v_add_f64 v[0:1], v[6:7], v[0:1]
	v_mul_f64 v[14:15], v[14:15], s[18:19]
	v_mul_f64 v[120:121], v[18:19], s[24:25]
	v_add_f64 v[109:110], v[109:110], v[246:247]
	s_delay_alu instid0(VALU_DEP_4) | instskip(NEXT) | instid1(VALU_DEP_4)
	v_add_f64 v[10:11], v[218:219], v[0:1]
	v_fma_f64 v[18:19], v[18:19], s[24:25], v[14:15]
	s_delay_alu instid0(VALU_DEP_4) | instskip(SKIP_4) | instid1(VALU_DEP_3)
	v_fma_f64 v[120:121], v[22:23], s[4:5], -v[120:121]
	v_fma_f64 v[14:15], v[22:23], s[16:17], -v[14:15]
	v_mul_f64 v[22:23], v[114:115], s[22:23]
	v_mul_f64 v[114:115], v[118:119], s[2:3]
	v_fma_f64 v[0:1], v[0:1], s[20:21], v[10:11]
	v_fma_f64 v[118:119], v[118:119], s[2:3], -v[22:23]
	v_fma_f64 v[22:23], v[116:117], s[10:11], v[22:23]
	s_delay_alu instid0(VALU_DEP_4) | instskip(NEXT) | instid1(VALU_DEP_4)
	v_fma_f64 v[114:115], v[116:117], s[14:15], -v[114:115]
	v_add_f64 v[18:19], v[18:19], v[0:1]
	v_add_f64 v[116:117], v[120:121], v[0:1]
	v_add_f64 v[0:1], v[14:15], v[0:1]
	v_fma_f64 v[14:15], v[109:110], s[0:1], v[22:23]
	v_fma_f64 v[22:23], v[109:110], s[0:1], v[118:119]
	v_fma_f64 v[109:110], v[109:110], s[0:1], v[114:115]
	s_delay_alu instid0(VALU_DEP_3) | instskip(NEXT) | instid1(VALU_DEP_3)
	v_add_f64 v[114:115], v[18:19], -v[14:15]
	v_add_f64 v[118:119], v[22:23], v[116:117]
	s_delay_alu instid0(VALU_DEP_3)
	v_add_f64 v[120:121], v[0:1], -v[109:110]
	ds_store_2addr_b64 v111, v[10:11], v[114:115] offset1:1
	ds_store_2addr_b64 v111, v[120:121], v[118:119] offset0:2 offset1:3
	v_add_f64 v[10:11], v[116:117], -v[22:23]
	v_add_f64 v[0:1], v[109:110], v[0:1]
	v_add_f64 v[14:15], v[14:15], v[18:19]
	ds_store_2addr_b64 v111, v[10:11], v[0:1] offset0:4 offset1:5
	ds_store_b64 v111, v[14:15] offset:48
	v_add_f64 v[0:1], v[145:146], v[128:129]
	v_add_f64 v[10:11], v[128:129], -v[172:173]
	v_add_f64 v[14:15], v[172:173], -v[145:146]
	v_add_f64 v[18:19], v[145:146], -v[128:129]
	v_add_f64 v[109:110], v[2:3], -v[126:127]
	v_add_f64 v[116:117], v[126:127], -v[130:131]
	v_add_f64 v[22:23], v[2:3], v[126:127]
	v_add_f64 v[114:115], v[130:131], -v[2:3]
	v_add_f64 v[0:1], v[172:173], v[0:1]
	v_mul_f64 v[10:11], v[10:11], s[18:19]
	v_mul_f64 v[118:119], v[14:15], s[24:25]
	v_add_f64 v[22:23], v[22:23], v[130:131]
	s_delay_alu instid0(VALU_DEP_4) | instskip(NEXT) | instid1(VALU_DEP_4)
	v_add_f64 v[5:6], v[212:213], v[0:1]
	v_fma_f64 v[14:15], v[14:15], s[24:25], v[10:11]
	s_delay_alu instid0(VALU_DEP_4) | instskip(SKIP_4) | instid1(VALU_DEP_3)
	v_fma_f64 v[118:119], v[18:19], s[4:5], -v[118:119]
	v_fma_f64 v[10:11], v[18:19], s[16:17], -v[10:11]
	v_mul_f64 v[18:19], v[109:110], s[22:23]
	v_mul_f64 v[109:110], v[116:117], s[2:3]
	v_fma_f64 v[0:1], v[0:1], s[20:21], v[5:6]
	v_fma_f64 v[116:117], v[116:117], s[2:3], -v[18:19]
	v_fma_f64 v[18:19], v[114:115], s[10:11], v[18:19]
	s_delay_alu instid0(VALU_DEP_4) | instskip(NEXT) | instid1(VALU_DEP_4)
	v_fma_f64 v[109:110], v[114:115], s[14:15], -v[109:110]
	v_add_f64 v[14:15], v[14:15], v[0:1]
	v_add_f64 v[114:115], v[118:119], v[0:1]
	v_add_f64 v[0:1], v[10:11], v[0:1]
	v_fma_f64 v[10:11], v[22:23], s[0:1], v[18:19]
	v_fma_f64 v[18:19], v[22:23], s[0:1], v[116:117]
	v_fma_f64 v[22:23], v[22:23], s[0:1], v[109:110]
	s_delay_alu instid0(VALU_DEP_3) | instskip(NEXT) | instid1(VALU_DEP_3)
	v_add_f64 v[109:110], v[14:15], -v[10:11]
	v_add_f64 v[116:117], v[18:19], v[114:115]
	s_delay_alu instid0(VALU_DEP_3)
	;; [unrolled: 43-line block ×3, first 2 shown]
	v_add_f64 v[114:115], v[0:1], -v[14:15]
	ds_store_2addr_b64 v113, v[2:3], v[18:19] offset1:1
	ds_store_2addr_b64 v113, v[114:115], v[109:110] offset0:2 offset1:3
	v_add_f64 v[2:3], v[22:23], -v[10:11]
	v_add_f64 v[0:1], v[14:15], v[0:1]
	v_add_f64 v[4:5], v[4:5], v[6:7]
	scratch_store_b32 off, v113, off offset:396 ; 4-byte Folded Spill
	ds_store_2addr_b64 v113, v[2:3], v[0:1] offset0:4 offset1:5
	ds_store_b64 v113, v[4:5] offset:48
	v_dual_mov_b32 v113, v147 :: v_dual_and_b32 v0, 0xff, v233
	s_waitcnt lgkmcnt(0)
	s_waitcnt_vscnt null, 0x0
	s_barrier
	buffer_gl0_inv
	ds_load_2addr_b64 v[4:7], v160 offset0:87 offset1:136
	v_mul_lo_u16 v0, v0, 37
	s_delay_alu instid0(VALU_DEP_1) | instskip(NEXT) | instid1(VALU_DEP_1)
	v_lshrrev_b16 v0, 8, v0
	v_sub_nc_u16 v1, v233, v0
	s_delay_alu instid0(VALU_DEP_1) | instskip(NEXT) | instid1(VALU_DEP_1)
	v_lshrrev_b16 v1, 1, v1
	v_and_b32_e32 v1, 0x7f, v1
	s_delay_alu instid0(VALU_DEP_1) | instskip(NEXT) | instid1(VALU_DEP_1)
	v_add_nc_u16 v0, v1, v0
	v_lshrrev_b16 v140, 2, v0
	s_delay_alu instid0(VALU_DEP_1) | instskip(NEXT) | instid1(VALU_DEP_1)
	v_mul_lo_u16 v0, v140, 7
	v_sub_nc_u16 v0, v233, v0
	s_delay_alu instid0(VALU_DEP_1) | instskip(NEXT) | instid1(VALU_DEP_1)
	v_and_b32_e32 v110, 0xff, v0
	v_mul_u32_u24_e32 v0, 6, v110
	s_delay_alu instid0(VALU_DEP_1)
	v_lshlrev_b32_e32 v14, 4, v0
	s_clause 0x1
	global_load_b128 v[0:3], v14, s[8:9]
	global_load_b128 v[124:127], v14, s[8:9] offset:16
	s_waitcnt vmcnt(1) lgkmcnt(0)
	v_mul_f64 v[10:11], v[4:5], v[2:3]
	v_mul_f64 v[2:3], v[104:105], v[2:3]
	s_waitcnt vmcnt(0)
	v_mul_f64 v[22:23], v[42:43], v[126:127]
	s_delay_alu instid0(VALU_DEP_3) | instskip(NEXT) | instid1(VALU_DEP_3)
	v_fma_f64 v[244:245], v[104:105], v[0:1], -v[10:11]
	v_fma_f64 v[200:201], v[4:5], v[0:1], v[2:3]
	v_and_b32_e32 v2, 0xff, v254
	s_delay_alu instid0(VALU_DEP_1) | instskip(NEXT) | instid1(VALU_DEP_1)
	v_mul_lo_u16 v2, v2, 37
	v_lshrrev_b16 v2, 8, v2
	s_delay_alu instid0(VALU_DEP_1) | instskip(NEXT) | instid1(VALU_DEP_1)
	v_sub_nc_u16 v3, v254, v2
	v_lshrrev_b16 v3, 1, v3
	s_delay_alu instid0(VALU_DEP_1) | instskip(NEXT) | instid1(VALU_DEP_1)
	v_and_b32_e32 v3, 0x7f, v3
	v_add_nc_u16 v2, v3, v2
	s_delay_alu instid0(VALU_DEP_1) | instskip(NEXT) | instid1(VALU_DEP_1)
	v_lshrrev_b16 v109, 2, v2
	v_mul_lo_u16 v2, v109, 7
	s_delay_alu instid0(VALU_DEP_1) | instskip(NEXT) | instid1(VALU_DEP_1)
	v_sub_nc_u16 v2, v254, v2
	v_and_b32_e32 v111, 0xff, v2
	s_delay_alu instid0(VALU_DEP_1) | instskip(NEXT) | instid1(VALU_DEP_1)
	v_mul_u32_u24_e32 v2, 6, v111
	v_lshlrev_b32_e32 v10, 4, v2
	s_clause 0x2
	global_load_b128 v[2:5], v10, s[8:9]
	global_load_b128 v[114:117], v10, s[8:9] offset:16
	global_load_b128 v[176:179], v14, s[8:9] offset:48
	s_waitcnt vmcnt(2)
	v_mul_f64 v[18:19], v[6:7], v[4:5]
	v_mul_f64 v[4:5], v[106:107], v[4:5]
	s_delay_alu instid0(VALU_DEP_2) | instskip(NEXT) | instid1(VALU_DEP_2)
	v_fma_f64 v[180:181], v[106:107], v[2:3], -v[18:19]
	v_fma_f64 v[222:223], v[6:7], v[2:3], v[4:5]
	global_load_b128 v[4:7], v14, s[8:9] offset:32
	ds_load_2addr_b64 v[104:107], v161 offset0:5 offset1:54
	s_clause 0x1
	global_load_b128 v[118:121], v10, s[8:9] offset:32
	global_load_b128 v[128:131], v10, s[8:9] offset:48
	s_waitcnt vmcnt(2) lgkmcnt(0)
	v_mul_f64 v[2:3], v[104:105], v[6:7]
	v_mul_f64 v[6:7], v[100:101], v[6:7]
	s_delay_alu instid0(VALU_DEP_2) | instskip(NEXT) | instid1(VALU_DEP_2)
	v_fma_f64 v[2:3], v[100:101], v[4:5], -v[2:3]
	v_fma_f64 v[4:5], v[104:105], v[4:5], v[6:7]
	s_waitcnt vmcnt(1)
	v_mul_f64 v[6:7], v[106:107], v[120:121]
	s_delay_alu instid0(VALU_DEP_1)
	v_fma_f64 v[8:9], v[102:103], v[118:119], -v[6:7]
	v_mul_f64 v[6:7], v[102:103], v[120:121]
	s_clause 0x1
	global_load_b128 v[100:103], v14, s[8:9] offset:64
	global_load_b128 v[228:231], v14, s[8:9] offset:80
	v_fma_f64 v[192:193], v[106:107], v[118:119], v[6:7]
	ds_load_2addr_b64 v[104:107], v151 offset0:179 offset1:228
	s_waitcnt vmcnt(1) lgkmcnt(0)
	v_mul_f64 v[6:7], v[104:105], v[102:103]
	v_mul_f64 v[14:15], v[96:97], v[102:103]
	s_delay_alu instid0(VALU_DEP_2) | instskip(NEXT) | instid1(VALU_DEP_2)
	v_fma_f64 v[6:7], v[96:97], v[100:101], -v[6:7]
	v_fma_f64 v[14:15], v[104:105], v[100:101], v[14:15]
	s_clause 0x1
	global_load_b128 v[100:103], v10, s[8:9] offset:64
	global_load_b128 v[118:121], v10, s[8:9] offset:80
	v_and_b32_e32 v10, 0xff, v243
	s_delay_alu instid0(VALU_DEP_1) | instskip(NEXT) | instid1(VALU_DEP_1)
	v_mul_lo_u16 v10, v10, 37
	v_lshrrev_b16 v10, 8, v10
	s_delay_alu instid0(VALU_DEP_1) | instskip(NEXT) | instid1(VALU_DEP_1)
	v_sub_nc_u16 v11, v243, v10
	v_lshrrev_b16 v11, 1, v11
	s_delay_alu instid0(VALU_DEP_1) | instskip(NEXT) | instid1(VALU_DEP_1)
	v_and_b32_e32 v11, 0x7f, v11
	v_add_nc_u16 v10, v11, v10
	s_waitcnt vmcnt(1)
	v_mul_f64 v[18:19], v[106:107], v[102:103]
	s_delay_alu instid0(VALU_DEP_1)
	v_fma_f64 v[224:225], v[98:99], v[100:101], -v[18:19]
	v_mul_f64 v[18:19], v[98:99], v[102:103]
	ds_load_2addr_b64 v[96:99], v147 offset0:95 offset1:144
	v_fma_f64 v[12:13], v[106:107], v[100:101], v[18:19]
	s_waitcnt lgkmcnt(0)
	v_mul_f64 v[18:19], v[96:97], v[116:117]
	s_delay_alu instid0(VALU_DEP_1) | instskip(SKIP_1) | instid1(VALU_DEP_1)
	v_fma_f64 v[194:195], v[92:93], v[114:115], -v[18:19]
	v_mul_f64 v[18:19], v[92:93], v[116:117]
	v_fma_f64 v[238:239], v[96:97], v[114:115], v[18:19]
	v_lshrrev_b16 v96, 2, v10
	s_delay_alu instid0(VALU_DEP_1) | instskip(NEXT) | instid1(VALU_DEP_1)
	v_mul_lo_u16 v10, v96, 7
	v_sub_nc_u16 v10, v243, v10
	s_delay_alu instid0(VALU_DEP_1) | instskip(NEXT) | instid1(VALU_DEP_1)
	v_and_b32_e32 v97, 0xff, v10
	v_mul_u32_u24_e32 v10, 6, v97
	s_delay_alu instid0(VALU_DEP_1)
	v_lshlrev_b32_e32 v10, 4, v10
	s_clause 0x1
	global_load_b128 v[104:107], v10, s[8:9] offset:16
	global_load_b128 v[114:117], v10, s[8:9]
	s_waitcnt vmcnt(1)
	v_mul_f64 v[18:19], v[98:99], v[106:107]
	s_delay_alu instid0(VALU_DEP_1)
	v_fma_f64 v[142:143], v[94:95], v[104:105], -v[18:19]
	v_mul_f64 v[18:19], v[94:95], v[106:107]
	ds_load_2addr_b64 v[92:95], v16 offset0:141 offset1:190
	v_fma_f64 v[148:149], v[98:99], v[104:105], v[18:19]
	s_waitcnt lgkmcnt(0)
	v_mul_f64 v[18:19], v[92:93], v[130:131]
	s_delay_alu instid0(VALU_DEP_1) | instskip(SKIP_1) | instid1(VALU_DEP_1)
	v_fma_f64 v[136:137], v[88:89], v[128:129], -v[18:19]
	v_mul_f64 v[18:19], v[88:89], v[130:131]
	v_fma_f64 v[122:123], v[92:93], v[128:129], v[18:19]
	s_clause 0x1
	global_load_b128 v[98:101], v10, s[8:9] offset:48
	global_load_b128 v[128:131], v10, s[8:9] offset:32
	s_waitcnt vmcnt(1)
	v_mul_f64 v[18:19], v[94:95], v[100:101]
	s_delay_alu instid0(VALU_DEP_1) | instskip(SKIP_2) | instid1(VALU_DEP_2)
	v_fma_f64 v[240:241], v[90:91], v[98:99], -v[18:19]
	v_mul_f64 v[18:19], v[90:91], v[100:101]
	v_dual_mov_b32 v90, v152 :: v_dual_mov_b32 v91, v214
	v_fma_f64 v[144:145], v[94:95], v[98:99], v[18:19]
	ds_load_2addr_b64 v[98:101], v153 offset0:59 offset1:108
	s_waitcnt lgkmcnt(0)
	v_mul_f64 v[18:19], v[98:99], v[120:121]
	s_delay_alu instid0(VALU_DEP_1) | instskip(SKIP_1) | instid1(VALU_DEP_1)
	v_fma_f64 v[104:105], v[84:85], v[118:119], -v[18:19]
	v_mul_f64 v[18:19], v[84:85], v[120:121]
	v_fma_f64 v[92:93], v[98:99], v[118:119], v[18:19]
	s_clause 0x1
	global_load_b128 v[118:121], v10, s[8:9] offset:80
	global_load_b128 v[132:135], v10, s[8:9] offset:64
	s_waitcnt vmcnt(1)
	v_mul_f64 v[18:19], v[100:101], v[120:121]
	s_delay_alu instid0(VALU_DEP_1)
	v_fma_f64 v[162:163], v[86:87], v[118:119], -v[18:19]
	v_mul_f64 v[18:19], v[86:87], v[120:121]
	ds_load_2addr_b64 v[84:87], v160 offset0:185 offset1:234
	v_fma_f64 v[166:167], v[100:101], v[118:119], v[18:19]
	s_waitcnt lgkmcnt(0)
	v_mul_f64 v[18:19], v[84:85], v[116:117]
	s_delay_alu instid0(VALU_DEP_1) | instskip(SKIP_4) | instid1(VALU_DEP_1)
	v_fma_f64 v[168:169], v[80:81], v[114:115], -v[18:19]
	v_and_b32_e32 v10, 0xff, v150
	v_mul_f64 v[18:19], v[80:81], v[116:117]
	scratch_store_b32 off, v10, off offset:188 ; 4-byte Folded Spill
	v_mul_lo_u16 v10, v10, 37
	v_lshrrev_b16 v10, 8, v10
	s_delay_alu instid0(VALU_DEP_1) | instskip(NEXT) | instid1(VALU_DEP_1)
	v_sub_nc_u16 v11, v150, v10
	v_lshrrev_b16 v11, 1, v11
	s_delay_alu instid0(VALU_DEP_1) | instskip(NEXT) | instid1(VALU_DEP_1)
	v_and_b32_e32 v11, 0x7f, v11
	v_add_nc_u16 v10, v11, v10
	s_delay_alu instid0(VALU_DEP_1) | instskip(SKIP_1) | instid1(VALU_DEP_2)
	v_lshrrev_b16 v80, 2, v10
	v_fma_f64 v[184:185], v[84:85], v[114:115], v[18:19]
	v_mul_lo_u16 v10, v80, 7
	s_delay_alu instid0(VALU_DEP_1) | instskip(NEXT) | instid1(VALU_DEP_1)
	v_sub_nc_u16 v10, v150, v10
	v_and_b32_e32 v81, 0xff, v10
	s_delay_alu instid0(VALU_DEP_1) | instskip(NEXT) | instid1(VALU_DEP_1)
	v_mul_u32_u24_e32 v10, 6, v81
	v_lshlrev_b32_e32 v10, 4, v10
	s_clause 0x1
	global_load_b128 v[98:101], v10, s[8:9]
	global_load_b128 v[114:117], v10, s[8:9] offset:16
	s_waitcnt vmcnt(1)
	v_mul_f64 v[18:19], v[86:87], v[100:101]
	s_delay_alu instid0(VALU_DEP_1)
	v_fma_f64 v[20:21], v[82:83], v[98:99], -v[18:19]
	v_mul_f64 v[18:19], v[82:83], v[100:101]
	ds_load_2addr_b64 v[82:85], v161 offset0:103 offset1:152
	v_fma_f64 v[119:120], v[86:87], v[98:99], v[18:19]
	s_clause 0x1
	global_load_b128 v[86:89], v10, s[8:9] offset:32
	global_load_b128 v[98:101], v10, s[8:9] offset:48
	s_waitcnt lgkmcnt(0)
	v_mul_f64 v[18:19], v[82:83], v[130:131]
	s_delay_alu instid0(VALU_DEP_1) | instskip(SKIP_1) | instid1(VALU_DEP_1)
	v_fma_f64 v[236:237], v[76:77], v[128:129], -v[18:19]
	v_mul_f64 v[18:19], v[76:77], v[130:131]
	v_fma_f64 v[204:205], v[82:83], v[128:129], v[18:19]
	s_waitcnt vmcnt(1)
	v_mul_f64 v[18:19], v[84:85], v[88:89]
	s_delay_alu instid0(VALU_DEP_1)
	v_fma_f64 v[130:131], v[78:79], v[86:87], -v[18:19]
	v_mul_f64 v[18:19], v[78:79], v[88:89]
	ds_load_2addr_b64 v[76:79], v157 offset0:21 offset1:70
	v_fma_f64 v[146:147], v[84:85], v[86:87], v[18:19]
	s_waitcnt lgkmcnt(0)
	v_mul_f64 v[18:19], v[76:77], v[134:135]
	s_delay_alu instid0(VALU_DEP_1) | instskip(SKIP_1) | instid1(VALU_DEP_1)
	v_fma_f64 v[174:175], v[72:73], v[132:133], -v[18:19]
	v_mul_f64 v[18:19], v[72:73], v[134:135]
	v_fma_f64 v[106:107], v[76:77], v[132:133], v[18:19]
	s_clause 0x1
	scratch_store_b64 off, v[174:175], off offset:292
	scratch_store_b64 off, v[106:107], off offset:316
	s_clause 0x1
	global_load_b128 v[82:85], v10, s[8:9] offset:64
	global_load_b128 v[86:89], v10, s[8:9] offset:80
	v_and_b32_e32 v10, 0xff, v232
	scratch_store_b32 off, v10, off offset:180 ; 4-byte Folded Spill
	v_mul_lo_u16 v10, v10, 37
	s_delay_alu instid0(VALU_DEP_1) | instskip(NEXT) | instid1(VALU_DEP_1)
	v_lshrrev_b16 v10, 8, v10
	v_sub_nc_u16 v11, v232, v10
	s_delay_alu instid0(VALU_DEP_1) | instskip(NEXT) | instid1(VALU_DEP_1)
	v_lshrrev_b16 v11, 1, v11
	v_and_b32_e32 v11, 0x7f, v11
	s_delay_alu instid0(VALU_DEP_1) | instskip(SKIP_2) | instid1(VALU_DEP_1)
	v_add_nc_u16 v10, v11, v10
	s_waitcnt vmcnt(1)
	v_mul_f64 v[18:19], v[78:79], v[84:85]
	v_fma_f64 v[164:165], v[74:75], v[82:83], -v[18:19]
	v_mul_f64 v[18:19], v[74:75], v[84:85]
	ds_load_2addr_b64 v[72:75], v138 offset0:65 offset1:114
	v_fma_f64 v[172:173], v[78:79], v[82:83], v[18:19]
	s_waitcnt lgkmcnt(0)
	v_mul_f64 v[18:19], v[72:73], v[116:117]
	s_delay_alu instid0(VALU_DEP_1) | instskip(SKIP_2) | instid1(VALU_DEP_1)
	v_fma_f64 v[102:103], v[68:69], v[114:115], -v[18:19]
	v_mul_f64 v[18:19], v[68:69], v[116:117]
	v_lshrrev_b16 v68, 2, v10
	v_mul_lo_u16 v10, v68, 7
	s_delay_alu instid0(VALU_DEP_1) | instskip(NEXT) | instid1(VALU_DEP_1)
	v_sub_nc_u16 v10, v232, v10
	v_and_b32_e32 v69, 0xff, v10
	s_delay_alu instid0(VALU_DEP_1) | instskip(NEXT) | instid1(VALU_DEP_1)
	v_mul_u32_u24_e32 v10, 6, v69
	v_lshlrev_b32_e32 v10, 4, v10
	s_clause 0x1
	global_load_b128 v[76:79], v10, s[8:9] offset:16
	global_load_b128 v[82:85], v10, s[8:9]
	v_fma_f64 v[188:189], v[72:73], v[114:115], v[18:19]
	v_mov_b32_e32 v114, v16
	s_waitcnt vmcnt(1)
	v_mul_f64 v[18:19], v[74:75], v[78:79]
	s_delay_alu instid0(VALU_DEP_1)
	v_fma_f64 v[128:129], v[70:71], v[76:77], -v[18:19]
	v_mul_f64 v[18:19], v[70:71], v[78:79]
	ds_load_2addr_b64 v[70:73], v152 offset0:111 offset1:160
	v_fma_f64 v[132:133], v[74:75], v[76:77], v[18:19]
	s_waitcnt lgkmcnt(0)
	v_mul_f64 v[18:19], v[70:71], v[100:101]
	s_delay_alu instid0(VALU_DEP_1) | instskip(SKIP_1) | instid1(VALU_DEP_1)
	v_fma_f64 v[252:253], v[64:65], v[98:99], -v[18:19]
	v_mul_f64 v[18:19], v[64:65], v[100:101]
	v_fma_f64 v[210:211], v[70:71], v[98:99], v[18:19]
	s_clause 0x1
	global_load_b128 v[74:77], v10, s[8:9] offset:48
	global_load_b128 v[98:101], v10, s[8:9] offset:32
	s_waitcnt vmcnt(1)
	v_mul_f64 v[18:19], v[72:73], v[76:77]
	s_delay_alu instid0(VALU_DEP_1)
	v_fma_f64 v[94:95], v[66:67], v[74:75], -v[18:19]
	v_mul_f64 v[18:19], v[66:67], v[76:77]
	ds_load_2addr_b64 v[64:67], v153 offset0:157 offset1:206
	v_fma_f64 v[154:155], v[72:73], v[74:75], v[18:19]
	s_waitcnt lgkmcnt(0)
	v_mul_f64 v[18:19], v[64:65], v[88:89]
	s_delay_alu instid0(VALU_DEP_1)
	v_fma_f64 v[134:135], v[60:61], v[86:87], -v[18:19]
	v_mul_f64 v[18:19], v[60:61], v[88:89]
	scratch_store_b64 off, v[134:135], off offset:300 ; 8-byte Folded Spill
	s_clause 0x1
	global_load_b128 v[70:73], v10, s[8:9] offset:80
	global_load_b128 v[74:77], v10, s[8:9] offset:64
	v_fma_f64 v[117:118], v[64:65], v[86:87], v[18:19]
	v_and_b32_e32 v10, 0xffff, v171
	scratch_store_b32 off, v171, off offset:144 ; 4-byte Folded Spill
	v_mul_u32_u24_e32 v10, 0x2493, v10
	s_delay_alu instid0(VALU_DEP_1) | instskip(NEXT) | instid1(VALU_DEP_1)
	v_lshrrev_b32_e32 v10, 16, v10
	v_sub_nc_u16 v11, v171, v10
	s_delay_alu instid0(VALU_DEP_1) | instskip(NEXT) | instid1(VALU_DEP_1)
	v_lshrrev_b16 v11, 1, v11
	v_add_nc_u16 v10, v11, v10
	s_waitcnt vmcnt(1)
	v_mul_f64 v[18:19], v[66:67], v[72:73]
	s_delay_alu instid0(VALU_DEP_1)
	v_fma_f64 v[88:89], v[62:63], v[70:71], -v[18:19]
	v_mul_f64 v[18:19], v[62:63], v[72:73]
	ds_load_2addr_b64 v[60:63], v242 offset0:27 offset1:76
	v_fma_f64 v[182:183], v[66:67], v[70:71], v[18:19]
	s_waitcnt lgkmcnt(0)
	v_mul_f64 v[18:19], v[60:61], v[84:85]
	s_delay_alu instid0(VALU_DEP_1) | instskip(SKIP_2) | instid1(VALU_DEP_1)
	v_fma_f64 v[186:187], v[56:57], v[82:83], -v[18:19]
	v_mul_f64 v[18:19], v[56:57], v[84:85]
	v_lshrrev_b16 v56, 2, v10
	v_mul_lo_u16 v10, v56, 7
	s_delay_alu instid0(VALU_DEP_1) | instskip(SKIP_1) | instid1(VALU_DEP_2)
	v_sub_nc_u16 v10, v171, v10
	v_dual_mov_b32 v171, v21 :: v_dual_mov_b32 v170, v20
	v_and_b32_e32 v57, 0xffff, v10
	s_delay_alu instid0(VALU_DEP_1) | instskip(NEXT) | instid1(VALU_DEP_1)
	v_mul_u32_u24_e32 v10, 6, v57
	v_lshlrev_b32_e32 v10, 4, v10
	s_clause 0x1
	global_load_b128 v[64:67], v10, s[8:9]
	global_load_b128 v[70:73], v10, s[8:9] offset:16
	v_fma_f64 v[190:191], v[60:61], v[82:83], v[18:19]
	s_waitcnt vmcnt(1)
	v_mul_f64 v[18:19], v[62:63], v[66:67]
	s_delay_alu instid0(VALU_DEP_1)
	v_fma_f64 v[216:217], v[58:59], v[64:65], -v[18:19]
	v_mul_f64 v[18:19], v[58:59], v[66:67]
	ds_load_2addr_b64 v[58:61], v161 offset0:201 offset1:250
	v_mov_b32_e32 v67, v255
	v_fma_f64 v[208:209], v[62:63], v[64:65], v[18:19]
	s_clause 0x1
	global_load_b128 v[62:65], v10, s[8:9] offset:32
	global_load_b128 v[82:85], v10, s[8:9] offset:48
	s_waitcnt lgkmcnt(0)
	v_mul_f64 v[18:19], v[58:59], v[100:101]
	s_delay_alu instid0(VALU_DEP_1) | instskip(SKIP_1) | instid1(VALU_DEP_1)
	v_fma_f64 v[206:207], v[52:53], v[98:99], -v[18:19]
	v_mul_f64 v[18:19], v[52:53], v[100:101]
	v_fma_f64 v[218:219], v[58:59], v[98:99], v[18:19]
	s_waitcnt vmcnt(1)
	v_mul_f64 v[18:19], v[60:61], v[64:65]
	s_delay_alu instid0(VALU_DEP_1)
	v_fma_f64 v[152:153], v[54:55], v[62:63], -v[18:19]
	v_mul_f64 v[18:19], v[54:55], v[64:65]
	ds_load_2addr_b64 v[52:55], v157 offset0:119 offset1:168
	v_fma_f64 v[158:159], v[60:61], v[62:63], v[18:19]
	s_waitcnt lgkmcnt(0)
	v_mul_f64 v[18:19], v[52:53], v[76:77]
	s_delay_alu instid0(VALU_DEP_1)
	v_fma_f64 v[115:116], v[48:49], v[74:75], -v[18:19]
	v_mul_f64 v[18:19], v[48:49], v[76:77]
	scratch_store_b64 off, v[115:116], off offset:308 ; 8-byte Folded Spill
	s_clause 0x1
	global_load_b128 v[58:61], v10, s[8:9] offset:64
	global_load_b128 v[62:65], v10, s[8:9] offset:80
	v_fma_f64 v[202:203], v[52:53], v[74:75], v[18:19]
	v_and_b32_e32 v10, 0xffff, v112
	scratch_store_b32 off, v10, off offset:172 ; 4-byte Folded Spill
	v_mul_u32_u24_e32 v10, 0x2493, v10
	s_delay_alu instid0(VALU_DEP_1) | instskip(NEXT) | instid1(VALU_DEP_1)
	v_lshrrev_b32_e32 v10, 16, v10
	v_sub_nc_u16 v11, v112, v10
	s_delay_alu instid0(VALU_DEP_1) | instskip(NEXT) | instid1(VALU_DEP_1)
	v_lshrrev_b16 v11, 1, v11
	v_add_nc_u16 v10, v11, v10
	v_lshlrev_b32_e32 v11, 3, v110
	s_waitcnt vmcnt(1)
	v_mul_f64 v[18:19], v[54:55], v[60:61]
	s_delay_alu instid0(VALU_DEP_1)
	v_fma_f64 v[212:213], v[50:51], v[58:59], -v[18:19]
	v_mul_f64 v[18:19], v[50:51], v[60:61]
	ds_load_2addr_b64 v[48:51], v242 offset0:125 offset1:174
	s_waitcnt lgkmcnt(0)
	v_fma_f64 v[156:157], v[50:51], v[124:125], v[22:23]
	v_dual_mov_b32 v23, v9 :: v_dual_mov_b32 v22, v8
	v_fma_f64 v[220:221], v[54:55], v[58:59], v[18:19]
	v_mul_f64 v[18:19], v[50:51], v[126:127]
	s_delay_alu instid0(VALU_DEP_1) | instskip(SKIP_2) | instid1(VALU_DEP_2)
	v_fma_f64 v[100:101], v[42:43], v[124:125], -v[18:19]
	v_lshrrev_b16 v42, 2, v10
	v_mov_b32_e32 v124, v215
	v_mul_lo_u16 v10, v42, 7
	s_delay_alu instid0(VALU_DEP_1) | instskip(NEXT) | instid1(VALU_DEP_1)
	v_sub_nc_u16 v10, v112, v10
	v_and_b32_e32 v43, 0xffff, v10
	s_delay_alu instid0(VALU_DEP_1) | instskip(NEXT) | instid1(VALU_DEP_1)
	v_mul_u32_u24_e32 v10, 6, v43
	v_lshlrev_b32_e32 v10, 4, v10
	s_clause 0x1
	global_load_b128 v[50:53], v10, s[8:9]
	global_load_b128 v[58:61], v10, s[8:9] offset:16
	s_waitcnt vmcnt(1)
	v_mul_f64 v[54:55], v[48:49], v[52:53]
	s_delay_alu instid0(VALU_DEP_1)
	v_fma_f64 v[18:19], v[40:41], v[50:51], -v[54:55]
	v_mul_f64 v[40:41], v[40:41], v[52:53]
	scratch_store_b64 off, v[18:19], off offset:64 ; 8-byte Folded Spill
	v_fma_f64 v[18:19], v[48:49], v[50:51], v[40:41]
	ds_load_2addr_b64 v[48:51], v138 offset0:163 offset1:212
	s_waitcnt lgkmcnt(0)
	v_mul_f64 v[40:41], v[48:49], v[72:73]
	scratch_store_b64 off, v[18:19], off offset:112 ; 8-byte Folded Spill
	v_fma_f64 v[74:75], v[44:45], v[70:71], -v[40:41]
	v_mul_f64 v[40:41], v[44:45], v[72:73]
	s_delay_alu instid0(VALU_DEP_1) | instskip(SKIP_3) | instid1(VALU_DEP_2)
	v_fma_f64 v[126:127], v[48:49], v[70:71], v[40:41]
	s_waitcnt vmcnt(0)
	v_mul_f64 v[40:41], v[50:51], v[60:61]
	v_lshl_add_u32 v70, v150, 3, 0
	v_fma_f64 v[18:19], v[46:47], v[58:59], -v[40:41]
	v_mul_f64 v[40:41], v[46:47], v[60:61]
	ds_load_2addr_b64 v[44:47], v16 offset0:43 offset1:92
	s_clause 0x1
	scratch_store_b64 off, v[74:75], off offset:348
	scratch_store_b64 off, v[18:19], off offset:96
	v_fma_f64 v[98:99], v[50:51], v[58:59], v[40:41]
	s_waitcnt lgkmcnt(0)
	v_mul_f64 v[40:41], v[46:47], v[178:179]
	s_delay_alu instid0(VALU_DEP_1) | instskip(SKIP_2) | instid1(VALU_DEP_2)
	v_fma_f64 v[40:41], v[34:35], v[176:177], -v[40:41]
	v_mul_f64 v[34:35], v[34:35], v[178:179]
	v_dual_mov_b32 v179, v103 :: v_dual_mov_b32 v178, v102
	v_fma_f64 v[34:35], v[46:47], v[176:177], v[34:35]
	s_clause 0x1
	global_load_b128 v[46:49], v10, s[8:9] offset:32
	global_load_b128 v[50:53], v10, s[8:9] offset:48
	v_dual_mov_b32 v177, v165 :: v_dual_mov_b32 v176, v164
	v_dual_mov_b32 v165, v129 :: v_dual_mov_b32 v164, v128
	s_waitcnt vmcnt(1)
	v_mul_f64 v[54:55], v[44:45], v[48:49]
	s_delay_alu instid0(VALU_DEP_1)
	v_fma_f64 v[0:1], v[32:33], v[46:47], -v[54:55]
	v_mul_f64 v[32:33], v[32:33], v[48:49]
	scratch_store_b64 off, v[0:1], off offset:48 ; 8-byte Folded Spill
	v_fma_f64 v[0:1], v[44:45], v[46:47], v[32:33]
	ds_load_2addr_b64 v[44:47], v151 offset0:81 offset1:130
	s_waitcnt lgkmcnt(0)
	v_mul_f64 v[32:33], v[44:45], v[84:85]
	scratch_store_b64 off, v[0:1], off offset:120 ; 8-byte Folded Spill
	v_fma_f64 v[246:247], v[36:37], v[82:83], -v[32:33]
	v_mul_f64 v[32:33], v[36:37], v[84:85]
	s_delay_alu instid0(VALU_DEP_1) | instskip(SKIP_2) | instid1(VALU_DEP_1)
	v_fma_f64 v[0:1], v[44:45], v[82:83], v[32:33]
	s_waitcnt vmcnt(0)
	v_mul_f64 v[32:33], v[46:47], v[52:53]
	v_fma_f64 v[18:19], v[38:39], v[50:51], -v[32:33]
	v_mul_f64 v[32:33], v[38:39], v[52:53]
	scratch_store_b64 off, v[246:247], off offset:332 ; 8-byte Folded Spill
	ds_load_2addr_b64 v[36:39], v215 offset0:89 offset1:138
	scratch_store_b64 off, v[18:19], off offset:80 ; 8-byte Folded Spill
	v_fma_f64 v[18:19], v[46:47], v[50:51], v[32:33]
	s_waitcnt lgkmcnt(0)
	v_mul_f64 v[32:33], v[38:39], v[230:231]
	scratch_store_b64 off, v[18:19], off offset:128 ; 8-byte Folded Spill
	s_clause 0x1
	global_load_b128 v[44:47], v10, s[8:9] offset:64
	global_load_b128 v[48:51], v10, s[8:9] offset:80
	v_fma_f64 v[32:33], v[26:27], v[228:229], -v[32:33]
	v_mul_f64 v[26:27], v[26:27], v[230:231]
	s_clause 0x3
	scratch_load_b32 v66, off, off
	scratch_load_b32 v71, off, off offset:4
	scratch_load_b32 v72, off, off offset:20
	;; [unrolled: 1-line block ×3, first 2 shown]
	v_dual_mov_b32 v231, v143 :: v_dual_and_b32 v10, 0xffff, v140
	v_dual_mov_b32 v230, v142 :: v_dual_mov_b32 v143, v120
	ds_load_b64 v[84:85], v255
	v_mul_u32_u24_e32 v10, 0x188, v10
	ds_load_b64 v[86:87], v70
	scratch_store_b32 off, v67, off offset:136 ; 4-byte Folded Spill
	v_dual_mov_b32 v18, v180 :: v_dual_mov_b32 v19, v181
	v_add3_u32 v121, 0, v10, v11
	v_dual_mov_b32 v180, v222 :: v_dual_mov_b32 v181, v223
	v_dual_mov_b32 v223, v131 :: v_dual_mov_b32 v222, v130
	v_dual_mov_b32 v142, v119 :: v_dual_mov_b32 v119, v158
	v_mov_b32_e32 v120, v159
	v_fma_f64 v[26:27], v[38:39], v[228:229], v[26:27]
	v_dual_mov_b32 v229, v169 :: v_dual_mov_b32 v228, v168
	v_dual_mov_b32 v169, v95 :: v_dual_mov_b32 v168, v94
	s_waitcnt vmcnt(5)
	v_mul_f64 v[38:39], v[36:37], v[46:47]
	s_waitcnt vmcnt(3)
	ds_load_b64 v[140:141], v66
	s_waitcnt vmcnt(2)
	ds_load_b64 v[254:255], v71
	;; [unrolled: 2-line block ×3, first 2 shown]
	s_waitcnt lgkmcnt(0)
	scratch_store_b64 off, v[10:11], off offset:252 ; 8-byte Folded Spill
	s_waitcnt vmcnt(0)
	ds_load_b64 v[10:11], v73
	scratch_store_b32 off, v70, off offset:140 ; 4-byte Folded Spill
	v_fma_f64 v[138:139], v[24:25], v[44:45], -v[38:39]
	v_mul_f64 v[24:25], v[24:25], v[46:47]
	v_add_f64 v[46:47], v[156:157], -v[14:15]
	s_waitcnt lgkmcnt(0)
	scratch_store_b64 off, v[10:11], off offset:244 ; 8-byte Folded Spill
	v_dual_mov_b32 v10, v12 :: v_dual_mov_b32 v11, v13
	scratch_store_b64 off, v[138:139], off offset:260 ; 8-byte Folded Spill
	v_fma_f64 v[250:251], v[36:37], v[44:45], v[24:25]
	ds_load_2addr_b64 v[36:39], v214 offset0:127 offset1:176
	s_waitcnt lgkmcnt(0)
	v_mul_f64 v[24:25], v[36:37], v[64:65]
	s_delay_alu instid0(VALU_DEP_1) | instskip(SKIP_2) | instid1(VALU_DEP_2)
	v_fma_f64 v[82:83], v[28:29], v[62:63], -v[24:25]
	v_mul_f64 v[24:25], v[28:29], v[64:65]
	v_add_f64 v[28:29], v[100:101], v[6:7]
	v_fma_f64 v[76:77], v[36:37], v[62:63], v[24:25]
	v_mul_f64 v[24:25], v[38:39], v[50:51]
	ds_load_b64 v[62:63], v108
	s_clause 0x1
	scratch_store_b64 off, v[82:83], off offset:364
	scratch_store_b64 off, v[76:77], off offset:380
	v_fma_f64 v[78:79], v[30:31], v[48:49], -v[24:25]
	v_mul_f64 v[24:25], v[30:31], v[50:51]
	v_add_f64 v[30:31], v[2:3], v[40:41]
	v_add_f64 v[50:51], v[200:201], -v[26:27]
	v_add_f64 v[2:3], v[40:41], -v[2:3]
	scratch_store_b64 off, v[78:79], off offset:268 ; 8-byte Folded Spill
	v_fma_f64 v[214:215], v[38:39], v[48:49], v[24:25]
	v_add_f64 v[24:25], v[244:245], v[32:33]
	v_add_f64 v[48:49], v[34:35], -v[4:5]
	scratch_store_b64 off, v[250:251], off offset:276 ; 8-byte Folded Spill
	v_add_f64 v[4:5], v[4:5], v[34:35]
	v_add_f64 v[244:245], v[244:245], -v[32:33]
	scratch_store_b64 off, v[214:215], off offset:284 ; 8-byte Folded Spill
	v_add_f64 v[36:37], v[28:29], v[24:25]
	v_add_f64 v[38:39], v[24:25], -v[30:31]
	v_add_f64 v[54:55], v[48:49], -v[46:47]
	v_add_f64 v[52:53], v[48:49], v[46:47]
	v_add_f64 v[48:49], v[50:51], -v[48:49]
	v_add_f64 v[24:25], v[28:29], -v[24:25]
	s_waitcnt lgkmcnt(0)
	s_waitcnt_vscnt null, 0x0
	s_barrier
	buffer_gl0_inv
	s_clause 0x2
	scratch_load_b64 v[12:13], off, off offset:220
	scratch_load_b64 v[20:21], off, off offset:212
	;; [unrolled: 1-line block ×3, first 2 shown]
	v_add_f64 v[36:37], v[30:31], v[36:37]
	v_add_f64 v[30:31], v[30:31], -v[28:29]
	v_mul_f64 v[38:39], v[38:39], s[18:19]
	v_mul_f64 v[54:55], v[54:55], s[22:23]
	v_add_f64 v[28:29], v[46:47], -v[50:51]
	v_add_f64 v[52:53], v[52:53], v[50:51]
	v_add_f64 v[46:47], v[122:123], -v[192:193]
	v_add_f64 v[44:45], v[226:227], v[36:37]
	v_mov_b32_e32 v226, v252
	v_fma_f64 v[58:59], v[30:31], s[24:25], v[38:39]
	v_mul_f64 v[30:31], v[30:31], s[24:25]
	v_fma_f64 v[60:61], v[48:49], s[10:11], v[54:55]
	v_mov_b32_e32 v227, v253
	v_dual_mov_b32 v253, v99 :: v_dual_mov_b32 v252, v98
	v_fma_f64 v[36:37], v[36:37], s[20:21], v[44:45]
	v_fma_f64 v[30:31], v[24:25], s[4:5], -v[30:31]
	v_fma_f64 v[24:25], v[24:25], s[16:17], -v[38:39]
	v_mul_f64 v[38:39], v[28:29], s[2:3]
	v_fma_f64 v[60:61], v[52:53], s[0:1], v[60:61]
	v_fma_f64 v[28:29], v[28:29], s[2:3], -v[54:55]
	v_add_f64 v[58:59], v[58:59], v[36:37]
	v_add_f64 v[30:31], v[30:31], v[36:37]
	;; [unrolled: 1-line block ×3, first 2 shown]
	v_fma_f64 v[38:39], v[48:49], s[14:15], -v[38:39]
	v_add_f64 v[48:49], v[180:181], -v[92:93]
	v_fma_f64 v[28:29], v[52:53], s[0:1], v[28:29]
	v_add_f64 v[64:65], v[60:61], v[58:59]
	s_delay_alu instid0(VALU_DEP_4)
	v_fma_f64 v[36:37], v[52:53], s[0:1], v[38:39]
	ds_store_2addr_b64 v121, v[44:45], v[64:65] offset1:7
	v_add_f64 v[44:45], v[30:31], -v[28:29]
	v_add_f64 v[28:29], v[28:29], v[30:31]
	v_add_f64 v[30:31], v[22:23], v[136:137]
	;; [unrolled: 1-line block ×3, first 2 shown]
	v_add_f64 v[24:25], v[24:25], -v[36:37]
	ds_store_2addr_b64 v121, v[38:39], v[44:45] offset0:14 offset1:21
	ds_store_2addr_b64 v121, v[28:29], v[24:25] offset0:28 offset1:35
	v_add_f64 v[24:25], v[58:59], -v[60:61]
	v_add_f64 v[28:29], v[194:195], v[224:225]
	v_add_f64 v[44:45], v[238:239], -v[10:11]
	ds_store_b64 v121, v[24:25] offset:336
	v_and_b32_e32 v24, 0xffff, v109
	v_lshlrev_b32_e32 v25, 3, v111
	v_add_f64 v[52:53], v[46:47], -v[44:45]
	v_add_f64 v[50:51], v[46:47], v[44:45]
	v_add_f64 v[46:47], v[48:49], -v[46:47]
	v_mul_u32_u24_e32 v24, 0x188, v24
	s_delay_alu instid0(VALU_DEP_1) | instskip(SKIP_3) | instid1(VALU_DEP_3)
	v_add3_u32 v109, 0, v24, v25
	v_add_f64 v[24:25], v[18:19], v[104:105]
	v_mul_f64 v[52:53], v[52:53], s[22:23]
	v_add_f64 v[50:51], v[50:51], v[48:49]
	v_add_f64 v[36:37], v[28:29], v[24:25]
	v_add_f64 v[38:39], v[24:25], -v[30:31]
	s_delay_alu instid0(VALU_DEP_4) | instskip(NEXT) | instid1(VALU_DEP_3)
	v_fma_f64 v[58:59], v[46:47], s[10:11], v[52:53]
	v_add_f64 v[36:37], v[30:31], v[36:37]
	v_add_f64 v[30:31], v[30:31], -v[28:29]
	s_delay_alu instid0(VALU_DEP_4) | instskip(NEXT) | instid1(VALU_DEP_4)
	v_mul_f64 v[38:39], v[38:39], s[18:19]
	v_fma_f64 v[58:59], v[50:51], s[0:1], v[58:59]
	s_delay_alu instid0(VALU_DEP_4) | instskip(SKIP_1) | instid1(VALU_DEP_4)
	v_add_f64 v[8:9], v[234:235], v[36:37]
	v_mov_b32_e32 v235, v163
	v_fma_f64 v[54:55], v[30:31], s[24:25], v[38:39]
	v_dual_mov_b32 v234, v162 :: v_dual_mov_b32 v163, v89
	s_delay_alu instid0(VALU_DEP_4) | instskip(NEXT) | instid1(VALU_DEP_1)
	v_fma_f64 v[36:37], v[36:37], s[20:21], v[8:9]
	v_add_f64 v[54:55], v[54:55], v[36:37]
	s_delay_alu instid0(VALU_DEP_1) | instskip(SKIP_4) | instid1(VALU_DEP_2)
	v_add_f64 v[60:61], v[58:59], v[54:55]
	ds_store_2addr_b64 v109, v[8:9], v[60:61] offset1:7
	v_add_f64 v[8:9], v[28:29], -v[24:25]
	v_add_f64 v[24:25], v[44:45], -v[48:49]
	v_mul_f64 v[28:29], v[30:31], s[24:25]
	v_mul_f64 v[30:31], v[24:25], s[2:3]
	s_delay_alu instid0(VALU_DEP_2) | instskip(SKIP_2) | instid1(VALU_DEP_4)
	v_fma_f64 v[28:29], v[8:9], s[4:5], -v[28:29]
	v_fma_f64 v[8:9], v[8:9], s[16:17], -v[38:39]
	;; [unrolled: 1-line block ×4, first 2 shown]
	s_delay_alu instid0(VALU_DEP_4) | instskip(NEXT) | instid1(VALU_DEP_4)
	v_add_f64 v[28:29], v[28:29], v[36:37]
	v_add_f64 v[8:9], v[8:9], v[36:37]
	s_delay_alu instid0(VALU_DEP_4) | instskip(SKIP_2) | instid1(VALU_DEP_3)
	v_fma_f64 v[24:25], v[50:51], s[0:1], v[24:25]
	v_add_f64 v[46:47], v[184:185], -v[166:167]
	v_fma_f64 v[30:31], v[50:51], s[0:1], v[30:31]
	v_add_f64 v[38:39], v[28:29], -v[24:25]
	v_add_f64 v[24:25], v[24:25], v[28:29]
	v_add_f64 v[28:29], v[236:237], v[240:241]
	s_delay_alu instid0(VALU_DEP_4)
	v_add_f64 v[36:37], v[30:31], v[8:9]
	v_add_f64 v[8:9], v[8:9], -v[30:31]
	ds_store_2addr_b64 v109, v[36:37], v[38:39] offset0:14 offset1:21
	ds_store_2addr_b64 v109, v[24:25], v[8:9] offset0:28 offset1:35
	v_add_f64 v[8:9], v[54:55], -v[58:59]
	v_add_f64 v[24:25], v[230:231], v[174:175]
	v_dual_mov_b32 v175, v145 :: v_dual_mov_b32 v174, v144
	v_add_f64 v[38:39], v[148:149], -v[106:107]
	v_mov_b32_e32 v162, v88
	v_dual_mov_b32 v144, v216 :: v_dual_mov_b32 v145, v217
	s_delay_alu instid0(VALU_DEP_4)
	v_add_f64 v[44:45], v[174:175], -v[204:205]
	v_dual_mov_b32 v88, v126 :: v_dual_mov_b32 v89, v127
	v_dual_mov_b32 v107, v1 :: v_dual_mov_b32 v106, v0
	scratch_load_b64 v[0:1], off, off offset:64 ; 8-byte Folded Reload
	ds_store_b64 v109, v[8:9] offset:336
	v_and_b32_e32 v8, 0xffff, v96
	v_lshlrev_b32_e32 v9, 3, v97
	s_delay_alu instid0(VALU_DEP_2) | instskip(SKIP_3) | instid1(VALU_DEP_4)
	v_mul_u32_u24_e32 v8, 0x188, v8
	v_add_f64 v[50:51], v[44:45], -v[38:39]
	v_add_f64 v[48:49], v[44:45], v[38:39]
	v_add_f64 v[44:45], v[46:47], -v[44:45]
	v_add3_u32 v111, 0, v8, v9
	v_add_f64 v[8:9], v[228:229], v[234:235]
	v_mul_f64 v[50:51], v[50:51], s[22:23]
	v_add_f64 v[48:49], v[48:49], v[46:47]
	s_delay_alu instid0(VALU_DEP_3) | instskip(SKIP_3) | instid1(VALU_DEP_4)
	v_add_f64 v[30:31], v[24:25], v[8:9]
	v_add_f64 v[36:37], v[8:9], -v[28:29]
	v_add_f64 v[8:9], v[24:25], -v[8:9]
	v_fma_f64 v[54:55], v[44:45], s[10:11], v[50:51]
	v_add_f64 v[30:31], v[28:29], v[30:31]
	v_add_f64 v[28:29], v[28:29], -v[24:25]
	v_mul_f64 v[36:37], v[36:37], s[18:19]
	s_delay_alu instid0(VALU_DEP_4) | instskip(SKIP_1) | instid1(VALU_DEP_4)
	v_fma_f64 v[54:55], v[48:49], s[0:1], v[54:55]
	s_waitcnt vmcnt(3)
	v_add_f64 v[12:13], v[12:13], v[30:31]
	s_delay_alu instid0(VALU_DEP_4) | instskip(NEXT) | instid1(VALU_DEP_4)
	v_mul_f64 v[24:25], v[28:29], s[24:25]
	v_fma_f64 v[52:53], v[28:29], s[24:25], v[36:37]
	s_delay_alu instid0(VALU_DEP_3) | instskip(NEXT) | instid1(VALU_DEP_3)
	v_fma_f64 v[30:31], v[30:31], s[20:21], v[12:13]
	v_fma_f64 v[24:25], v[8:9], s[4:5], -v[24:25]
	v_fma_f64 v[8:9], v[8:9], s[16:17], -v[36:37]
	s_delay_alu instid0(VALU_DEP_3) | instskip(NEXT) | instid1(VALU_DEP_3)
	v_add_f64 v[52:53], v[52:53], v[30:31]
	v_add_f64 v[24:25], v[24:25], v[30:31]
	s_delay_alu instid0(VALU_DEP_3) | instskip(NEXT) | instid1(VALU_DEP_3)
	v_add_f64 v[8:9], v[8:9], v[30:31]
	v_add_f64 v[58:59], v[54:55], v[52:53]
	ds_store_2addr_b64 v111, v[12:13], v[58:59] offset1:7
	v_add_f64 v[12:13], v[38:39], -v[46:47]
	v_add_f64 v[38:39], v[210:211], -v[146:147]
	s_delay_alu instid0(VALU_DEP_2) | instskip(SKIP_1) | instid1(VALU_DEP_2)
	v_mul_f64 v[28:29], v[12:13], s[2:3]
	v_fma_f64 v[12:13], v[12:13], s[2:3], -v[50:51]
	v_fma_f64 v[28:29], v[44:45], s[14:15], -v[28:29]
	s_delay_alu instid0(VALU_DEP_2) | instskip(NEXT) | instid1(VALU_DEP_2)
	v_fma_f64 v[12:13], v[48:49], s[0:1], v[12:13]
	v_fma_f64 v[28:29], v[48:49], s[0:1], v[28:29]
	s_delay_alu instid0(VALU_DEP_2) | instskip(SKIP_2) | instid1(VALU_DEP_4)
	v_add_f64 v[36:37], v[24:25], -v[12:13]
	v_add_f64 v[12:13], v[12:13], v[24:25]
	v_add_f64 v[24:25], v[222:223], v[226:227]
	;; [unrolled: 1-line block ×3, first 2 shown]
	v_add_f64 v[8:9], v[8:9], -v[28:29]
	ds_store_2addr_b64 v111, v[30:31], v[36:37] offset0:14 offset1:21
	ds_store_2addr_b64 v111, v[12:13], v[8:9] offset0:28 offset1:35
	v_add_f64 v[8:9], v[52:53], -v[54:55]
	v_add_f64 v[12:13], v[178:179], v[176:177]
	v_add_f64 v[36:37], v[188:189], -v[172:173]
	ds_store_b64 v111, v[8:9] offset:336
	v_and_b32_e32 v8, 0xffff, v80
	v_lshlrev_b32_e32 v9, 3, v81
	v_add_f64 v[48:49], v[38:39], -v[36:37]
	v_add_f64 v[46:47], v[38:39], v[36:37]
	s_delay_alu instid0(VALU_DEP_4) | instskip(NEXT) | instid1(VALU_DEP_1)
	v_mul_u32_u24_e32 v8, 0x188, v8
	v_add3_u32 v110, 0, v8, v9
	v_add_f64 v[8:9], v[170:171], v[134:135]
	v_dual_mov_b32 v135, v118 :: v_dual_mov_b32 v134, v117
	v_dual_mov_b32 v117, v132 :: v_dual_mov_b32 v118, v133
	;; [unrolled: 1-line block ×3, first 2 shown]
	v_add_nc_u32_e32 v209, 0x1800, v108
	s_delay_alu instid0(VALU_DEP_4)
	v_add_f64 v[44:45], v[142:143], -v[134:135]
	v_mov_b32_e32 v208, v161
	v_mul_f64 v[48:49], v[48:49], s[22:23]
	v_add_f64 v[28:29], v[12:13], v[8:9]
	v_add_f64 v[30:31], v[8:9], -v[24:25]
	v_add_f64 v[8:9], v[12:13], -v[8:9]
	;; [unrolled: 1-line block ×3, first 2 shown]
	v_add_f64 v[46:47], v[46:47], v[44:45]
	v_add_f64 v[28:29], v[24:25], v[28:29]
	v_add_f64 v[24:25], v[24:25], -v[12:13]
	v_mul_f64 v[30:31], v[30:31], s[18:19]
	v_add_f64 v[12:13], v[36:37], -v[44:45]
	v_add_f64 v[36:37], v[154:155], -v[218:219]
	v_fma_f64 v[52:53], v[38:39], s[10:11], v[48:49]
	s_waitcnt vmcnt(2)
	v_add_f64 v[20:21], v[20:21], v[28:29]
	v_fma_f64 v[50:51], v[24:25], s[24:25], v[30:31]
	s_delay_alu instid0(VALU_DEP_3) | instskip(NEXT) | instid1(VALU_DEP_3)
	v_fma_f64 v[52:53], v[46:47], s[0:1], v[52:53]
	v_fma_f64 v[28:29], v[28:29], s[20:21], v[20:21]
	s_delay_alu instid0(VALU_DEP_1) | instskip(NEXT) | instid1(VALU_DEP_1)
	v_add_f64 v[50:51], v[50:51], v[28:29]
	v_add_f64 v[54:55], v[52:53], v[50:51]
	ds_store_2addr_b64 v110, v[20:21], v[54:55] offset1:7
	v_mul_f64 v[20:21], v[24:25], s[24:25]
	v_mul_f64 v[24:25], v[12:13], s[2:3]
	v_fma_f64 v[12:13], v[12:13], s[2:3], -v[48:49]
	s_delay_alu instid0(VALU_DEP_3) | instskip(SKIP_1) | instid1(VALU_DEP_4)
	v_fma_f64 v[20:21], v[8:9], s[4:5], -v[20:21]
	v_fma_f64 v[8:9], v[8:9], s[16:17], -v[30:31]
	;; [unrolled: 1-line block ×3, first 2 shown]
	s_delay_alu instid0(VALU_DEP_4) | instskip(SKIP_4) | instid1(VALU_DEP_3)
	v_fma_f64 v[12:13], v[46:47], s[0:1], v[12:13]
	v_add_f64 v[38:39], v[190:191], -v[182:183]
	v_add_f64 v[20:21], v[20:21], v[28:29]
	v_add_f64 v[8:9], v[8:9], v[28:29]
	v_fma_f64 v[24:25], v[46:47], s[0:1], v[24:25]
	v_add_f64 v[30:31], v[20:21], -v[12:13]
	v_add_f64 v[12:13], v[12:13], v[20:21]
	s_delay_alu instid0(VALU_DEP_3)
	v_add_f64 v[28:29], v[24:25], v[8:9]
	v_add_f64 v[8:9], v[8:9], -v[24:25]
	v_add_f64 v[20:21], v[206:207], v[168:169]
	ds_store_2addr_b64 v110, v[28:29], v[30:31] offset0:14 offset1:21
	ds_store_2addr_b64 v110, v[12:13], v[8:9] offset0:28 offset1:35
	v_add_f64 v[8:9], v[50:51], -v[52:53]
	v_add_f64 v[12:13], v[164:165], v[115:116]
	v_add_f64 v[30:31], v[117:118], -v[202:203]
	ds_store_b64 v110, v[8:9] offset:336
	v_and_b32_e32 v8, 0xffff, v68
	v_lshlrev_b32_e32 v9, 3, v69
	v_add_f64 v[46:47], v[36:37], -v[30:31]
	v_add_f64 v[44:45], v[36:37], v[30:31]
	v_add_f64 v[36:37], v[38:39], -v[36:37]
	v_mul_u32_u24_e32 v8, 0x188, v8
	s_delay_alu instid0(VALU_DEP_1) | instskip(SKIP_3) | instid1(VALU_DEP_3)
	v_add3_u32 v125, 0, v8, v9
	v_add_f64 v[8:9], v[186:187], v[162:163]
	v_mul_f64 v[46:47], v[46:47], s[22:23]
	v_add_f64 v[44:45], v[44:45], v[38:39]
	v_add_f64 v[24:25], v[12:13], v[8:9]
	v_add_f64 v[28:29], v[8:9], -v[20:21]
	v_add_f64 v[8:9], v[12:13], -v[8:9]
	v_fma_f64 v[50:51], v[36:37], s[10:11], v[46:47]
	s_delay_alu instid0(VALU_DEP_4)
	v_add_f64 v[24:25], v[20:21], v[24:25]
	v_add_f64 v[20:21], v[20:21], -v[12:13]
	v_mul_f64 v[28:29], v[28:29], s[18:19]
	v_add_f64 v[12:13], v[30:31], -v[38:39]
	v_add_f64 v[30:31], v[88:89], -v[220:221]
	;; [unrolled: 1-line block ×3, first 2 shown]
	v_fma_f64 v[50:51], v[44:45], s[0:1], v[50:51]
	s_waitcnt vmcnt(1)
	v_add_f64 v[16:17], v[16:17], v[24:25]
	v_fma_f64 v[48:49], v[20:21], s[24:25], v[28:29]
	s_delay_alu instid0(VALU_DEP_2) | instskip(NEXT) | instid1(VALU_DEP_1)
	v_fma_f64 v[24:25], v[24:25], s[20:21], v[16:17]
	v_add_f64 v[48:49], v[48:49], v[24:25]
	s_delay_alu instid0(VALU_DEP_1) | instskip(SKIP_4) | instid1(VALU_DEP_3)
	v_add_f64 v[52:53], v[50:51], v[48:49]
	ds_store_2addr_b64 v125, v[16:17], v[52:53] offset1:7
	v_mul_f64 v[16:17], v[20:21], s[24:25]
	v_mul_f64 v[20:21], v[12:13], s[2:3]
	v_fma_f64 v[12:13], v[12:13], s[2:3], -v[46:47]
	v_fma_f64 v[16:17], v[8:9], s[4:5], -v[16:17]
	;; [unrolled: 1-line block ×3, first 2 shown]
	s_delay_alu instid0(VALU_DEP_4) | instskip(NEXT) | instid1(VALU_DEP_4)
	v_fma_f64 v[20:21], v[36:37], s[14:15], -v[20:21]
	v_fma_f64 v[12:13], v[44:45], s[0:1], v[12:13]
	v_add_f64 v[36:37], v[106:107], -v[119:120]
	v_add_f64 v[16:17], v[16:17], v[24:25]
	v_add_f64 v[8:9], v[8:9], v[24:25]
	v_fma_f64 v[20:21], v[44:45], s[0:1], v[20:21]
	s_delay_alu instid0(VALU_DEP_4)
	v_add_f64 v[46:47], v[36:37], -v[30:31]
	v_add_f64 v[44:45], v[36:37], v[30:31]
	v_add_f64 v[36:37], v[38:39], -v[36:37]
	v_add_f64 v[28:29], v[16:17], -v[12:13]
	v_add_f64 v[12:13], v[12:13], v[16:17]
	v_add_f64 v[24:25], v[20:21], v[8:9]
	v_add_f64 v[8:9], v[8:9], -v[20:21]
	v_add_f64 v[16:17], v[152:153], v[246:247]
	v_mul_f64 v[46:47], v[46:47], s[22:23]
	v_add_f64 v[44:45], v[44:45], v[38:39]
	v_add_f64 v[246:247], v[100:101], -v[6:7]
	ds_store_2addr_b64 v125, v[24:25], v[28:29] offset0:14 offset1:21
	scratch_load_b64 v[28:29], off, off offset:156 ; 8-byte Folded Reload
	ds_store_2addr_b64 v125, v[12:13], v[8:9] offset0:28 offset1:35
	v_add_f64 v[8:9], v[48:49], -v[50:51]
	v_add_f64 v[12:13], v[74:75], v[212:213]
	v_fma_f64 v[50:51], v[36:37], s[10:11], v[46:47]
	ds_store_b64 v125, v[8:9] offset:336
	v_and_b32_e32 v8, 0xffff, v56
	v_lshlrev_b32_e32 v9, 3, v57
	v_fma_f64 v[50:51], v[44:45], s[0:1], v[50:51]
	s_delay_alu instid0(VALU_DEP_3) | instskip(NEXT) | instid1(VALU_DEP_1)
	v_mul_u32_u24_e32 v8, 0x188, v8
	v_add3_u32 v94, 0, v8, v9
	v_add_f64 v[8:9], v[144:145], v[82:83]
	s_delay_alu instid0(VALU_DEP_1) | instskip(SKIP_2) | instid1(VALU_DEP_3)
	v_add_f64 v[20:21], v[12:13], v[8:9]
	v_add_f64 v[24:25], v[8:9], -v[16:17]
	v_add_f64 v[8:9], v[12:13], -v[8:9]
	v_add_f64 v[20:21], v[16:17], v[20:21]
	v_add_f64 v[16:17], v[16:17], -v[12:13]
	s_delay_alu instid0(VALU_DEP_4) | instskip(SKIP_2) | instid1(VALU_DEP_3)
	v_mul_f64 v[24:25], v[24:25], s[18:19]
	v_add_f64 v[12:13], v[30:31], -v[38:39]
	v_add_f64 v[30:31], v[252:253], -v[250:251]
	v_fma_f64 v[48:49], v[16:17], s[24:25], v[24:25]
	v_mul_f64 v[16:17], v[16:17], s[24:25]
	s_delay_alu instid0(VALU_DEP_1) | instskip(SKIP_3) | instid1(VALU_DEP_2)
	v_fma_f64 v[16:17], v[8:9], s[4:5], -v[16:17]
	v_fma_f64 v[8:9], v[8:9], s[16:17], -v[24:25]
	v_mul_f64 v[24:25], v[12:13], s[2:3]
	v_fma_f64 v[12:13], v[12:13], s[2:3], -v[46:47]
	v_fma_f64 v[24:25], v[36:37], s[14:15], -v[24:25]
	s_delay_alu instid0(VALU_DEP_2) | instskip(SKIP_2) | instid1(VALU_DEP_1)
	v_fma_f64 v[12:13], v[44:45], s[0:1], v[12:13]
	s_waitcnt vmcnt(0)
	v_add_f64 v[28:29], v[28:29], v[20:21]
	v_fma_f64 v[20:21], v[20:21], s[20:21], v[28:29]
	s_delay_alu instid0(VALU_DEP_1) | instskip(SKIP_3) | instid1(VALU_DEP_4)
	v_add_f64 v[48:49], v[48:49], v[20:21]
	v_add_f64 v[16:17], v[16:17], v[20:21]
	;; [unrolled: 1-line block ×3, first 2 shown]
	v_fma_f64 v[20:21], v[44:45], s[0:1], v[24:25]
	v_add_f64 v[52:53], v[50:51], v[48:49]
	s_delay_alu instid0(VALU_DEP_2)
	v_add_f64 v[24:25], v[20:21], v[8:9]
	v_add_f64 v[8:9], v[8:9], -v[20:21]
	ds_store_2addr_b64 v94, v[28:29], v[52:53] offset1:7
	v_add_f64 v[28:29], v[16:17], -v[12:13]
	v_add_f64 v[12:13], v[12:13], v[16:17]
	ds_store_2addr_b64 v94, v[24:25], v[28:29] offset0:14 offset1:21
	ds_store_2addr_b64 v94, v[12:13], v[8:9] offset0:28 offset1:35
	v_add_f64 v[8:9], v[48:49], -v[50:51]
	ds_store_b64 v94, v[8:9] offset:336
	v_and_b32_e32 v8, 0xffff, v42
	v_lshlrev_b32_e32 v9, 3, v43
	s_delay_alu instid0(VALU_DEP_2) | instskip(NEXT) | instid1(VALU_DEP_1)
	v_mul_u32_u24_e32 v8, 0x188, v8
	v_add3_u32 v95, 0, v8, v9
	v_add_f64 v[8:9], v[0:1], v[78:79]
	scratch_load_b64 v[0:1], off, off offset:96 ; 8-byte Folded Reload
	s_waitcnt vmcnt(0)
	v_add_f64 v[12:13], v[0:1], v[138:139]
	s_clause 0x2
	scratch_load_b64 v[0:1], off, off offset:48
	scratch_load_b64 v[16:17], off, off offset:80
	;; [unrolled: 1-line block ×3, first 2 shown]
	v_add_f64 v[20:21], v[12:13], v[8:9]
	s_waitcnt vmcnt(1)
	v_add_f64 v[16:17], v[0:1], v[16:17]
	s_clause 0x1
	scratch_load_b64 v[0:1], off, off offset:120
	scratch_load_b64 v[36:37], off, off offset:128
	v_add_f64 v[24:25], v[8:9], -v[16:17]
	v_add_f64 v[20:21], v[16:17], v[20:21]
	v_add_f64 v[16:17], v[16:17], -v[12:13]
	v_add_f64 v[8:9], v[12:13], -v[8:9]
	s_delay_alu instid0(VALU_DEP_4) | instskip(SKIP_1) | instid1(VALU_DEP_4)
	v_mul_f64 v[24:25], v[24:25], s[18:19]
	s_waitcnt vmcnt(2)
	v_add_f64 v[28:29], v[28:29], v[20:21]
	s_delay_alu instid0(VALU_DEP_2) | instskip(SKIP_1) | instid1(VALU_DEP_3)
	v_fma_f64 v[46:47], v[16:17], s[24:25], v[24:25]
	v_mul_f64 v[16:17], v[16:17], s[24:25]
	v_fma_f64 v[20:21], v[20:21], s[20:21], v[28:29]
	s_delay_alu instid0(VALU_DEP_2) | instskip(SKIP_1) | instid1(VALU_DEP_3)
	v_fma_f64 v[16:17], v[8:9], s[4:5], -v[16:17]
	v_fma_f64 v[8:9], v[8:9], s[16:17], -v[24:25]
	v_add_f64 v[46:47], v[46:47], v[20:21]
	s_delay_alu instid0(VALU_DEP_3) | instskip(NEXT) | instid1(VALU_DEP_3)
	v_add_f64 v[16:17], v[16:17], v[20:21]
	v_add_f64 v[8:9], v[8:9], v[20:21]
	s_waitcnt vmcnt(0)
	v_add_f64 v[36:37], v[36:37], -v[0:1]
	scratch_load_b64 v[0:1], off, off offset:112 ; 8-byte Folded Reload
	v_add_f64 v[44:45], v[36:37], -v[30:31]
	v_add_f64 v[42:43], v[36:37], v[30:31]
	s_delay_alu instid0(VALU_DEP_2)
	v_mul_f64 v[44:45], v[44:45], s[22:23]
	s_waitcnt vmcnt(0)
	v_add_f64 v[38:39], v[0:1], -v[214:215]
	v_add_f64 v[0:1], v[200:201], v[26:27]
	v_add_f64 v[200:201], v[156:157], v[14:15]
	v_add_f64 v[14:15], v[2:3], -v[246:247]
	s_delay_alu instid0(VALU_DEP_4)
	v_add_f64 v[36:37], v[38:39], -v[36:37]
	v_add_f64 v[12:13], v[30:31], -v[38:39]
	v_add_f64 v[42:43], v[42:43], v[38:39]
	v_add_f64 v[6:7], v[200:201], v[0:1]
	v_mul_f64 v[138:139], v[14:15], s[22:23]
	v_fma_f64 v[48:49], v[36:37], s[10:11], v[44:45]
	v_mul_f64 v[24:25], v[12:13], s[2:3]
	v_fma_f64 v[12:13], v[12:13], s[2:3], -v[44:45]
	v_add_f64 v[6:7], v[4:5], v[6:7]
	s_delay_alu instid0(VALU_DEP_4) | instskip(NEXT) | instid1(VALU_DEP_4)
	v_fma_f64 v[48:49], v[42:43], s[0:1], v[48:49]
	v_fma_f64 v[24:25], v[36:37], s[14:15], -v[24:25]
	s_delay_alu instid0(VALU_DEP_4) | instskip(NEXT) | instid1(VALU_DEP_4)
	v_fma_f64 v[12:13], v[42:43], s[0:1], v[12:13]
	v_add_f64 v[248:249], v[62:63], v[6:7]
	s_delay_alu instid0(VALU_DEP_4) | instskip(NEXT) | instid1(VALU_DEP_4)
	v_add_f64 v[50:51], v[48:49], v[46:47]
	v_fma_f64 v[20:21], v[42:43], s[0:1], v[24:25]
	s_delay_alu instid0(VALU_DEP_3)
	v_fma_f64 v[6:7], v[6:7], s[20:21], v[248:249]
	ds_store_2addr_b64 v95, v[28:29], v[50:51] offset1:7
	v_add_f64 v[24:25], v[20:21], v[8:9]
	v_add_f64 v[28:29], v[16:17], -v[12:13]
	v_add_f64 v[12:13], v[12:13], v[16:17]
	v_add_f64 v[8:9], v[8:9], -v[20:21]
	v_add_nc_u32_e32 v16, 0x4000, v108
	v_add_nc_u32_e32 v17, 0x3800, v108
	ds_store_2addr_b64 v95, v[24:25], v[28:29] offset0:14 offset1:21
	ds_store_2addr_b64 v95, v[12:13], v[8:9] offset0:28 offset1:35
	v_add_f64 v[8:9], v[46:47], -v[48:49]
	v_add_f64 v[12:13], v[2:3], v[246:247]
	v_add_f64 v[2:3], v[244:245], -v[2:3]
	ds_store_b64 v95, v[8:9] offset:336
	v_add_f64 v[8:9], v[0:1], -v[4:5]
	v_add_f64 v[4:5], v[4:5], -v[200:201]
	v_add_f64 v[250:251], v[12:13], v[244:245]
	s_waitcnt lgkmcnt(0)
	s_barrier
	buffer_gl0_inv
	v_add_f64 v[0:1], v[200:201], -v[0:1]
	v_mul_f64 v[8:9], v[8:9], s[18:19]
	s_delay_alu instid0(VALU_DEP_1) | instskip(SKIP_1) | instid1(VALU_DEP_2)
	v_fma_f64 v[12:13], v[4:5], s[24:25], v[8:9]
	v_mul_f64 v[4:5], v[4:5], s[24:25]
	v_add_f64 v[214:215], v[12:13], v[6:7]
	v_fma_f64 v[12:13], v[2:3], s[10:11], v[138:139]
	s_delay_alu instid0(VALU_DEP_3) | instskip(SKIP_1) | instid1(VALU_DEP_3)
	v_fma_f64 v[4:5], v[0:1], s[4:5], -v[4:5]
	v_fma_f64 v[0:1], v[0:1], s[16:17], -v[8:9]
	v_fma_f64 v[216:217], v[250:251], s[0:1], v[12:13]
	ds_load_b64 v[12:13], v108
	v_add_f64 v[4:5], v[4:5], v[6:7]
	v_add_f64 v[0:1], v[0:1], v[6:7]
	s_waitcnt lgkmcnt(0)
	scratch_store_b64 off, v[12:13], off offset:236 ; 8-byte Folded Spill
	ds_load_b64 v[12:13], v66
	v_add_f64 v[126:127], v[214:215], -v[216:217]
	s_waitcnt lgkmcnt(0)
	scratch_store_b64 off, v[12:13], off offset:228 ; 8-byte Folded Spill
	ds_load_b64 v[12:13], v67
	s_waitcnt lgkmcnt(0)
	scratch_store_b64 off, v[12:13], off offset:220 ; 8-byte Folded Spill
	ds_load_b64 v[12:13], v70
	;; [unrolled: 3-line block ×5, first 2 shown]
	s_waitcnt lgkmcnt(0)
	scratch_store_b64 off, v[12:13], off offset:148 ; 8-byte Folded Spill
	ds_load_2addr_b64 v[80:83], v160 offset0:87 offset1:136
	ds_load_2addr_b64 v[24:27], v242 offset0:125 offset1:174
	;; [unrolled: 1-line block ×21, first 2 shown]
	s_waitcnt lgkmcnt(0)
	s_waitcnt_vscnt null, 0x0
	s_barrier
	buffer_gl0_inv
	ds_store_2addr_b64 v121, v[248:249], v[126:127] offset1:7
	v_add_f64 v[126:127], v[246:247], -v[244:245]
	v_add_f64 v[90:91], v[136:137], -v[22:23]
	v_mov_b32_e32 v161, v112
	s_delay_alu instid0(VALU_DEP_3) | instskip(NEXT) | instid1(VALU_DEP_1)
	v_mul_f64 v[8:9], v[126:127], s[2:3]
	v_fma_f64 v[2:3], v[2:3], s[14:15], -v[8:9]
	v_fma_f64 v[8:9], v[126:127], s[2:3], -v[138:139]
	s_delay_alu instid0(VALU_DEP_2) | instskip(NEXT) | instid1(VALU_DEP_2)
	v_fma_f64 v[2:3], v[250:251], s[0:1], v[2:3]
	v_fma_f64 v[6:7], v[250:251], s[0:1], v[8:9]
	s_delay_alu instid0(VALU_DEP_2) | instskip(NEXT) | instid1(VALU_DEP_2)
	v_add_f64 v[8:9], v[0:1], -v[2:3]
	v_add_f64 v[126:127], v[6:7], v[4:5]
	v_add_f64 v[4:5], v[4:5], -v[6:7]
	v_add_f64 v[0:1], v[2:3], v[0:1]
	v_add_f64 v[2:3], v[238:239], v[10:11]
	v_add_f64 v[6:7], v[194:195], -v[224:225]
	scratch_load_b64 v[10:11], off, off offset:332 ; 8-byte Folded Reload
	ds_store_2addr_b64 v121, v[8:9], v[126:127] offset0:14 offset1:21
	v_add_f64 v[8:9], v[192:193], v[122:123]
	ds_store_2addr_b64 v121, v[4:5], v[0:1] offset0:28 offset1:35
	v_add_f64 v[0:1], v[216:217], v[214:215]
	v_add_f64 v[4:5], v[18:19], -v[104:105]
	v_add_f64 v[123:124], v[90:91], v[6:7]
	v_add_f64 v[126:127], v[90:91], -v[6:7]
	ds_store_b64 v121, v[0:1] offset:336
	v_add_f64 v[0:1], v[180:181], v[92:93]
	v_add_f64 v[90:91], v[4:5], -v[90:91]
	v_add_f64 v[123:124], v[123:124], v[4:5]
	v_mul_f64 v[126:127], v[126:127], s[22:23]
	s_delay_alu instid0(VALU_DEP_4) | instskip(SKIP_2) | instid1(VALU_DEP_4)
	v_add_f64 v[92:93], v[2:3], v[0:1]
	v_add_f64 v[104:105], v[0:1], -v[8:9]
	v_add_f64 v[0:1], v[2:3], -v[0:1]
	v_fma_f64 v[138:139], v[90:91], s[10:11], v[126:127]
	s_delay_alu instid0(VALU_DEP_4)
	v_add_f64 v[92:93], v[8:9], v[92:93]
	v_add_f64 v[8:9], v[8:9], -v[2:3]
	v_add_f64 v[2:3], v[6:7], -v[4:5]
	v_mul_f64 v[104:105], v[104:105], s[18:19]
	v_fma_f64 v[138:139], v[123:124], s[0:1], v[138:139]
	v_add_f64 v[121:122], v[140:141], v[92:93]
	v_mul_f64 v[4:5], v[8:9], s[24:25]
	v_mul_f64 v[6:7], v[2:3], s[2:3]
	v_fma_f64 v[2:3], v[2:3], s[2:3], -v[126:127]
	v_fma_f64 v[136:137], v[8:9], s[24:25], v[104:105]
	v_fma_f64 v[92:93], v[92:93], s[20:21], v[121:122]
	v_fma_f64 v[4:5], v[0:1], s[4:5], -v[4:5]
	v_fma_f64 v[0:1], v[0:1], s[16:17], -v[104:105]
	;; [unrolled: 1-line block ×3, first 2 shown]
	v_fma_f64 v[2:3], v[123:124], s[0:1], v[2:3]
	v_add_f64 v[136:137], v[136:137], v[92:93]
	v_add_f64 v[4:5], v[4:5], v[92:93]
	;; [unrolled: 1-line block ×3, first 2 shown]
	v_fma_f64 v[6:7], v[123:124], s[0:1], v[6:7]
	s_delay_alu instid0(VALU_DEP_4) | instskip(NEXT) | instid1(VALU_DEP_4)
	v_add_f64 v[140:141], v[136:137], -v[138:139]
	v_add_f64 v[90:91], v[2:3], v[4:5]
	v_add_f64 v[2:3], v[4:5], -v[2:3]
	s_delay_alu instid0(VALU_DEP_4)
	v_add_f64 v[8:9], v[0:1], -v[6:7]
	v_add_f64 v[0:1], v[6:7], v[0:1]
	scratch_load_b64 v[6:7], off, off offset:292 ; 8-byte Folded Reload
	v_add_f64 v[4:5], v[228:229], -v[234:235]
	ds_store_2addr_b64 v109, v[121:122], v[140:141] offset1:7
	ds_store_2addr_b64 v109, v[8:9], v[90:91] offset0:14 offset1:21
	ds_store_2addr_b64 v109, v[2:3], v[0:1] offset0:28 offset1:35
	scratch_load_b64 v[2:3], off, off offset:316 ; 8-byte Folded Reload
	v_add_f64 v[0:1], v[138:139], v[136:137]
	v_add_f64 v[8:9], v[204:205], v[174:175]
	v_add_f64 v[90:91], v[240:241], -v[236:237]
	ds_store_b64 v109, v[0:1] offset:336
	v_add_f64 v[0:1], v[184:185], v[166:167]
	s_delay_alu instid0(VALU_DEP_1) | instskip(NEXT) | instid1(VALU_DEP_1)
	v_add_f64 v[104:105], v[0:1], -v[8:9]
	v_mul_f64 v[104:105], v[104:105], s[18:19]
	s_waitcnt vmcnt(1)
	v_add_f64 v[6:7], v[230:231], -v[6:7]
	s_waitcnt vmcnt(0)
	v_add_f64 v[2:3], v[148:149], v[2:3]
	s_delay_alu instid0(VALU_DEP_2) | instskip(SKIP_2) | instid1(VALU_DEP_4)
	v_add_f64 v[123:124], v[90:91], -v[6:7]
	v_add_f64 v[121:122], v[90:91], v[6:7]
	v_add_f64 v[90:91], v[4:5], -v[90:91]
	v_add_f64 v[92:93], v[2:3], v[0:1]
	s_delay_alu instid0(VALU_DEP_4) | instskip(SKIP_2) | instid1(VALU_DEP_4)
	v_mul_f64 v[123:124], v[123:124], s[22:23]
	v_add_f64 v[0:1], v[2:3], -v[0:1]
	v_add_f64 v[121:122], v[121:122], v[4:5]
	v_add_f64 v[92:93], v[8:9], v[92:93]
	v_add_f64 v[8:9], v[8:9], -v[2:3]
	v_add_f64 v[2:3], v[6:7], -v[4:5]
	v_fma_f64 v[136:137], v[90:91], s[10:11], v[123:124]
	s_delay_alu instid0(VALU_DEP_4) | instskip(NEXT) | instid1(VALU_DEP_4)
	v_add_f64 v[84:85], v[84:85], v[92:93]
	v_fma_f64 v[126:127], v[8:9], s[24:25], v[104:105]
	v_mul_f64 v[4:5], v[8:9], s[24:25]
	v_fma_f64 v[6:7], v[2:3], s[2:3], -v[123:124]
	v_mul_f64 v[2:3], v[2:3], s[2:3]
	v_fma_f64 v[136:137], v[121:122], s[0:1], v[136:137]
	v_fma_f64 v[92:93], v[92:93], s[20:21], v[84:85]
	v_fma_f64 v[4:5], v[0:1], s[4:5], -v[4:5]
	v_fma_f64 v[0:1], v[0:1], s[16:17], -v[104:105]
	;; [unrolled: 1-line block ×3, first 2 shown]
	v_fma_f64 v[6:7], v[121:122], s[0:1], v[6:7]
	v_add_f64 v[126:127], v[126:127], v[92:93]
	v_add_f64 v[4:5], v[4:5], v[92:93]
	;; [unrolled: 1-line block ×3, first 2 shown]
	v_fma_f64 v[2:3], v[121:122], s[0:1], v[2:3]
	s_delay_alu instid0(VALU_DEP_4) | instskip(NEXT) | instid1(VALU_DEP_4)
	v_add_f64 v[138:139], v[126:127], -v[136:137]
	v_add_f64 v[8:9], v[6:7], v[4:5]
	v_add_f64 v[4:5], v[4:5], -v[6:7]
	v_add_f64 v[6:7], v[178:179], -v[176:177]
	ds_store_2addr_b64 v111, v[84:85], v[138:139] offset1:7
	v_add_f64 v[84:85], v[0:1], -v[2:3]
	v_add_f64 v[0:1], v[2:3], v[0:1]
	v_add_f64 v[2:3], v[188:189], v[172:173]
	ds_store_2addr_b64 v111, v[84:85], v[8:9] offset0:14 offset1:21
	ds_store_2addr_b64 v111, v[4:5], v[0:1] offset0:28 offset1:35
	scratch_load_b64 v[4:5], off, off offset:300 ; 8-byte Folded Reload
	v_add_f64 v[0:1], v[136:137], v[126:127]
	v_add_f64 v[8:9], v[146:147], v[210:211]
	v_add_f64 v[84:85], v[226:227], -v[222:223]
	v_mov_b32_e32 v146, v242
	ds_store_b64 v111, v[0:1] offset:336
	v_add_f64 v[0:1], v[142:143], v[134:135]
	v_add_f64 v[104:105], v[84:85], v[6:7]
	v_add_f64 v[111:112], v[84:85], -v[6:7]
	s_delay_alu instid0(VALU_DEP_3) | instskip(SKIP_1) | instid1(VALU_DEP_3)
	v_add_f64 v[90:91], v[2:3], v[0:1]
	v_add_f64 v[92:93], v[0:1], -v[8:9]
	v_mul_f64 v[111:112], v[111:112], s[22:23]
	v_add_f64 v[0:1], v[2:3], -v[0:1]
	s_delay_alu instid0(VALU_DEP_4) | instskip(SKIP_2) | instid1(VALU_DEP_3)
	v_add_f64 v[90:91], v[8:9], v[90:91]
	v_add_f64 v[8:9], v[8:9], -v[2:3]
	v_mul_f64 v[92:93], v[92:93], s[18:19]
	v_add_f64 v[86:87], v[86:87], v[90:91]
	s_delay_alu instid0(VALU_DEP_2) | instskip(NEXT) | instid1(VALU_DEP_2)
	v_fma_f64 v[121:122], v[8:9], s[24:25], v[92:93]
	v_fma_f64 v[90:91], v[90:91], s[20:21], v[86:87]
	s_delay_alu instid0(VALU_DEP_1) | instskip(SKIP_2) | instid1(VALU_DEP_1)
	v_add_f64 v[121:122], v[121:122], v[90:91]
	s_waitcnt vmcnt(0)
	v_add_f64 v[4:5], v[170:171], -v[4:5]
	v_add_f64 v[84:85], v[4:5], -v[84:85]
	v_add_f64 v[104:105], v[104:105], v[4:5]
	v_add_f64 v[2:3], v[6:7], -v[4:5]
	v_mul_f64 v[4:5], v[8:9], s[24:25]
	s_delay_alu instid0(VALU_DEP_4) | instskip(NEXT) | instid1(VALU_DEP_3)
	v_fma_f64 v[123:124], v[84:85], s[10:11], v[111:112]
	v_fma_f64 v[6:7], v[2:3], s[2:3], -v[111:112]
	s_delay_alu instid0(VALU_DEP_3)
	v_fma_f64 v[4:5], v[0:1], s[4:5], -v[4:5]
	v_mul_f64 v[2:3], v[2:3], s[2:3]
	v_fma_f64 v[0:1], v[0:1], s[16:17], -v[92:93]
	v_fma_f64 v[123:124], v[104:105], s[0:1], v[123:124]
	v_fma_f64 v[6:7], v[104:105], s[0:1], v[6:7]
	v_add_f64 v[4:5], v[4:5], v[90:91]
	v_fma_f64 v[2:3], v[84:85], s[14:15], -v[2:3]
	v_add_f64 v[0:1], v[0:1], v[90:91]
	v_add_f64 v[126:127], v[121:122], -v[123:124]
	s_delay_alu instid0(VALU_DEP_4)
	v_add_f64 v[8:9], v[6:7], v[4:5]
	v_add_f64 v[4:5], v[4:5], -v[6:7]
	scratch_load_b64 v[6:7], off, off offset:308 ; 8-byte Folded Reload
	v_fma_f64 v[2:3], v[104:105], s[0:1], v[2:3]
	ds_store_2addr_b64 v110, v[86:87], v[126:127] offset1:7
	v_add_f64 v[84:85], v[0:1], -v[2:3]
	v_add_f64 v[0:1], v[2:3], v[0:1]
	v_add_f64 v[2:3], v[117:118], v[202:203]
	ds_store_2addr_b64 v110, v[84:85], v[8:9] offset0:14 offset1:21
	ds_store_2addr_b64 v110, v[4:5], v[0:1] offset0:28 offset1:35
	v_add_f64 v[0:1], v[123:124], v[121:122]
	v_add_f64 v[84:85], v[168:169], -v[206:207]
	v_add_f64 v[4:5], v[186:187], -v[162:163]
	v_add_f64 v[8:9], v[218:219], v[154:155]
	ds_store_b64 v110, v[0:1] offset:336
	v_add_f64 v[0:1], v[190:191], v[182:183]
	s_delay_alu instid0(VALU_DEP_1) | instskip(SKIP_2) | instid1(VALU_DEP_3)
	v_add_f64 v[86:87], v[2:3], v[0:1]
	v_add_f64 v[90:91], v[0:1], -v[8:9]
	v_add_f64 v[0:1], v[2:3], -v[0:1]
	v_add_f64 v[86:87], v[8:9], v[86:87]
	v_add_f64 v[8:9], v[8:9], -v[2:3]
	s_delay_alu instid0(VALU_DEP_4) | instskip(NEXT) | instid1(VALU_DEP_3)
	v_mul_f64 v[90:91], v[90:91], s[18:19]
	v_add_f64 v[92:93], v[254:255], v[86:87]
	s_delay_alu instid0(VALU_DEP_2) | instskip(NEXT) | instid1(VALU_DEP_2)
	v_fma_f64 v[111:112], v[8:9], s[24:25], v[90:91]
	v_fma_f64 v[86:87], v[86:87], s[20:21], v[92:93]
	s_delay_alu instid0(VALU_DEP_1) | instskip(SKIP_2) | instid1(VALU_DEP_1)
	v_add_f64 v[111:112], v[111:112], v[86:87]
	s_waitcnt vmcnt(0)
	v_add_f64 v[6:7], v[164:165], -v[6:7]
	v_add_f64 v[109:110], v[84:85], -v[6:7]
	v_add_f64 v[104:105], v[84:85], v[6:7]
	v_add_f64 v[2:3], v[6:7], -v[4:5]
	v_add_f64 v[84:85], v[4:5], -v[84:85]
	s_delay_alu instid0(VALU_DEP_4) | instskip(NEXT) | instid1(VALU_DEP_4)
	v_mul_f64 v[109:110], v[109:110], s[22:23]
	v_add_f64 v[104:105], v[104:105], v[4:5]
	v_mul_f64 v[4:5], v[8:9], s[24:25]
	s_delay_alu instid0(VALU_DEP_3) | instskip(SKIP_1) | instid1(VALU_DEP_3)
	v_fma_f64 v[6:7], v[2:3], s[2:3], -v[109:110]
	v_mul_f64 v[2:3], v[2:3], s[2:3]
	v_fma_f64 v[4:5], v[0:1], s[4:5], -v[4:5]
	v_fma_f64 v[0:1], v[0:1], s[16:17], -v[90:91]
	v_fma_f64 v[117:118], v[84:85], s[10:11], v[109:110]
	v_fma_f64 v[6:7], v[104:105], s[0:1], v[6:7]
	v_fma_f64 v[2:3], v[84:85], s[14:15], -v[2:3]
	v_add_f64 v[4:5], v[4:5], v[86:87]
	v_add_f64 v[0:1], v[0:1], v[86:87]
	v_fma_f64 v[117:118], v[104:105], s[0:1], v[117:118]
	s_delay_alu instid0(VALU_DEP_4) | instskip(NEXT) | instid1(VALU_DEP_4)
	v_fma_f64 v[2:3], v[104:105], s[0:1], v[2:3]
	v_add_f64 v[8:9], v[6:7], v[4:5]
	v_add_f64 v[4:5], v[4:5], -v[6:7]
	scratch_load_b64 v[6:7], off, off offset:348 ; 8-byte Folded Reload
	v_add_f64 v[121:122], v[111:112], -v[117:118]
	v_add_f64 v[84:85], v[0:1], -v[2:3]
	v_add_f64 v[0:1], v[2:3], v[0:1]
	v_add_f64 v[2:3], v[88:89], v[220:221]
	ds_store_2addr_b64 v125, v[92:93], v[121:122] offset1:7
	ds_store_2addr_b64 v125, v[84:85], v[8:9] offset0:14 offset1:21
	ds_store_2addr_b64 v125, v[4:5], v[0:1] offset0:28 offset1:35
	v_add_f64 v[0:1], v[117:118], v[111:112]
	scratch_load_b64 v[4:5], off, off offset:364 ; 8-byte Folded Reload
	v_add_f64 v[84:85], v[10:11], -v[152:153]
	scratch_load_b64 v[10:11], off, off offset:252 ; 8-byte Folded Reload
	v_add_f64 v[8:9], v[119:120], v[106:107]
	ds_store_b64 v125, v[0:1] offset:336
	scratch_load_b64 v[0:1], off, off offset:380 ; 8-byte Folded Reload
	s_waitcnt vmcnt(3)
	v_add_f64 v[6:7], v[6:7], -v[212:213]
	s_delay_alu instid0(VALU_DEP_1) | instskip(SKIP_3) | instid1(VALU_DEP_3)
	v_add_f64 v[106:107], v[84:85], -v[6:7]
	v_add_f64 v[104:105], v[84:85], v[6:7]
	s_waitcnt vmcnt(2)
	v_add_f64 v[4:5], v[144:145], -v[4:5]
	v_mul_f64 v[106:107], v[106:107], s[22:23]
	s_waitcnt vmcnt(0)
	v_add_f64 v[0:1], v[132:133], v[0:1]
	s_delay_alu instid0(VALU_DEP_3) | instskip(SKIP_1) | instid1(VALU_DEP_3)
	v_add_f64 v[84:85], v[4:5], -v[84:85]
	v_add_f64 v[104:105], v[104:105], v[4:5]
	v_add_f64 v[86:87], v[2:3], v[0:1]
	v_add_f64 v[90:91], v[0:1], -v[8:9]
	v_add_f64 v[0:1], v[2:3], -v[0:1]
	v_fma_f64 v[111:112], v[84:85], s[10:11], v[106:107]
	s_delay_alu instid0(VALU_DEP_4)
	v_add_f64 v[86:87], v[8:9], v[86:87]
	v_add_f64 v[8:9], v[8:9], -v[2:3]
	v_add_f64 v[2:3], v[6:7], -v[4:5]
	v_mul_f64 v[90:91], v[90:91], s[18:19]
	v_fma_f64 v[111:112], v[104:105], s[0:1], v[111:112]
	v_add_f64 v[92:93], v[10:11], v[86:87]
	v_mul_f64 v[4:5], v[8:9], s[24:25]
	v_fma_f64 v[6:7], v[2:3], s[2:3], -v[106:107]
	v_mul_f64 v[2:3], v[2:3], s[2:3]
	v_fma_f64 v[109:110], v[8:9], s[24:25], v[90:91]
	v_fma_f64 v[86:87], v[86:87], s[20:21], v[92:93]
	v_fma_f64 v[4:5], v[0:1], s[4:5], -v[4:5]
	v_fma_f64 v[0:1], v[0:1], s[16:17], -v[90:91]
	v_fma_f64 v[2:3], v[84:85], s[14:15], -v[2:3]
	v_fma_f64 v[6:7], v[104:105], s[0:1], v[6:7]
	v_add_f64 v[109:110], v[109:110], v[86:87]
	v_add_f64 v[4:5], v[4:5], v[86:87]
	v_add_f64 v[0:1], v[0:1], v[86:87]
	v_fma_f64 v[2:3], v[104:105], s[0:1], v[2:3]
	s_delay_alu instid0(VALU_DEP_4) | instskip(NEXT) | instid1(VALU_DEP_4)
	v_add_f64 v[117:118], v[109:110], -v[111:112]
	v_add_f64 v[8:9], v[6:7], v[4:5]
	v_add_f64 v[4:5], v[4:5], -v[6:7]
	s_delay_alu instid0(VALU_DEP_4)
	v_add_f64 v[84:85], v[0:1], -v[2:3]
	v_add_f64 v[0:1], v[2:3], v[0:1]
	ds_store_2addr_b64 v94, v[92:93], v[117:118] offset1:7
	ds_store_2addr_b64 v94, v[84:85], v[8:9] offset0:14 offset1:21
	ds_store_2addr_b64 v94, v[4:5], v[0:1] offset0:28 offset1:35
	v_add_f64 v[0:1], v[111:112], v[109:110]
	ds_store_b64 v94, v[0:1] offset:336
	s_clause 0x1
	scratch_load_b64 v[0:1], off, off offset:112
	scratch_load_b64 v[2:3], off, off offset:284
	s_waitcnt vmcnt(0)
	v_add_f64 v[0:1], v[0:1], v[2:3]
	s_clause 0x2
	scratch_load_b64 v[2:3], off, off offset:276
	scratch_load_b64 v[4:5], off, off offset:64
	;; [unrolled: 1-line block ×3, first 2 shown]
	s_waitcnt vmcnt(2)
	v_add_f64 v[2:3], v[252:253], v[2:3]
	s_waitcnt vmcnt(0)
	v_add_f64 v[4:5], v[4:5], -v[6:7]
	s_clause 0x1
	scratch_load_b64 v[6:7], off, off offset:96
	scratch_load_b64 v[8:9], off, off offset:260
	v_add_f64 v[86:87], v[2:3], v[0:1]
	s_waitcnt vmcnt(0)
	v_add_f64 v[6:7], v[6:7], -v[8:9]
	s_clause 0x1
	scratch_load_b64 v[8:9], off, off offset:120
	scratch_load_b64 v[10:11], off, off offset:128
	s_waitcnt vmcnt(0)
	v_add_f64 v[8:9], v[8:9], v[10:11]
	s_clause 0x1
	scratch_load_b64 v[10:11], off, off offset:48
	scratch_load_b64 v[16:17], off, off offset:80
	v_add_f64 v[86:87], v[8:9], v[86:87]
	v_add_f64 v[90:91], v[0:1], -v[8:9]
	v_add_f64 v[8:9], v[8:9], -v[2:3]
	;; [unrolled: 1-line block ×4, first 2 shown]
	s_delay_alu instid0(VALU_DEP_4) | instskip(NEXT) | instid1(VALU_DEP_1)
	v_mul_f64 v[90:91], v[90:91], s[18:19]
	v_fma_f64 v[106:107], v[8:9], s[24:25], v[90:91]
	s_waitcnt vmcnt(0)
	v_add_f64 v[84:85], v[16:17], -v[10:11]
	scratch_load_b64 v[10:11], off, off offset:244 ; 8-byte Folded Reload
	v_add_f64 v[104:105], v[84:85], -v[6:7]
	v_add_f64 v[92:93], v[84:85], v[6:7]
	v_add_f64 v[84:85], v[4:5], -v[84:85]
	s_delay_alu instid0(VALU_DEP_3) | instskip(NEXT) | instid1(VALU_DEP_3)
	v_mul_f64 v[104:105], v[104:105], s[22:23]
	v_add_f64 v[92:93], v[92:93], v[4:5]
	v_mul_f64 v[4:5], v[8:9], s[24:25]
	s_delay_alu instid0(VALU_DEP_3) | instskip(SKIP_2) | instid1(VALU_DEP_4)
	v_fma_f64 v[109:110], v[84:85], s[10:11], v[104:105]
	v_fma_f64 v[6:7], v[2:3], s[2:3], -v[104:105]
	v_mul_f64 v[2:3], v[2:3], s[2:3]
	v_fma_f64 v[4:5], v[0:1], s[4:5], -v[4:5]
	v_fma_f64 v[0:1], v[0:1], s[16:17], -v[90:91]
	v_fma_f64 v[109:110], v[92:93], s[0:1], v[109:110]
	v_fma_f64 v[6:7], v[92:93], s[0:1], v[6:7]
	v_fma_f64 v[2:3], v[84:85], s[14:15], -v[2:3]
	s_delay_alu instid0(VALU_DEP_1) | instskip(SKIP_2) | instid1(VALU_DEP_1)
	v_fma_f64 v[2:3], v[92:93], s[0:1], v[2:3]
	s_waitcnt vmcnt(0)
	v_add_f64 v[10:11], v[10:11], v[86:87]
	v_fma_f64 v[86:87], v[86:87], s[20:21], v[10:11]
	s_delay_alu instid0(VALU_DEP_1) | instskip(SKIP_2) | instid1(VALU_DEP_3)
	v_add_f64 v[106:107], v[106:107], v[86:87]
	v_add_f64 v[4:5], v[4:5], v[86:87]
	;; [unrolled: 1-line block ×3, first 2 shown]
	v_add_f64 v[111:112], v[106:107], -v[109:110]
	s_delay_alu instid0(VALU_DEP_3)
	v_add_f64 v[8:9], v[6:7], v[4:5]
	v_add_f64 v[4:5], v[4:5], -v[6:7]
	ds_store_2addr_b64 v95, v[10:11], v[111:112] offset1:7
	v_add_f64 v[10:11], v[0:1], -v[2:3]
	v_add_f64 v[0:1], v[2:3], v[0:1]
	ds_store_2addr_b64 v95, v[10:11], v[8:9] offset0:14 offset1:21
	ds_store_2addr_b64 v95, v[4:5], v[0:1] offset0:28 offset1:35
	v_add_f64 v[0:1], v[109:110], v[106:107]
	v_add_nc_u32_e32 v5, 0x3800, v108
	ds_store_b64 v95, v[0:1] offset:336
	v_mul_u32_u24_e32 v0, 6, v233
	s_waitcnt lgkmcnt(0)
	s_barrier
	buffer_gl0_inv
	ds_load_2addr_b64 v[91:94], v160 offset0:87 offset1:136
	v_lshlrev_b32_e32 v4, 4, v0
	ds_load_2addr_b64 v[104:107], v160 offset0:185 offset1:234
	s_clause 0x1
	scratch_store_b32 off, v243, off offset:308
	scratch_store_b32 off, v150, off offset:24
	s_clause 0x3
	global_load_b128 v[84:87], v4, s[8:9] offset:672
	global_load_b128 v[132:135], v4, s[8:9] offset:688
	;; [unrolled: 1-line block ×4, first 2 shown]
	scratch_store_b32 off, v4, off offset:456 ; 4-byte Folded Spill
	s_waitcnt vmcnt(3) lgkmcnt(1)
	v_mul_f64 v[0:1], v[91:92], v[86:87]
	v_mul_f64 v[2:3], v[82:83], v[86:87]
	s_delay_alu instid0(VALU_DEP_2) | instskip(SKIP_1) | instid1(VALU_DEP_3)
	v_fma_f64 v[6:7], v[80:81], v[84:85], -v[0:1]
	v_mul_f64 v[0:1], v[93:94], v[86:87]
	v_fma_f64 v[194:195], v[93:94], v[84:85], v[2:3]
	s_delay_alu instid0(VALU_DEP_2) | instskip(SKIP_4) | instid1(VALU_DEP_1)
	v_fma_f64 v[0:1], v[82:83], v[84:85], -v[0:1]
	s_clause 0x1
	scratch_store_b64 off, v[6:7], off offset:96
	scratch_store_b64 off, v[0:1], off offset:80
	v_mul_f64 v[0:1], v[80:81], v[86:87]
	v_fma_f64 v[179:180], v[91:92], v[84:85], v[0:1]
	global_load_b128 v[84:87], v4, s[8:9] offset:704
	ds_load_2addr_b64 v[91:94], v208 offset0:5 offset1:54
	s_waitcnt vmcnt(0) lgkmcnt(0)
	v_mul_f64 v[0:1], v[91:92], v[86:87]
	v_mul_f64 v[2:3], v[78:79], v[86:87]
	s_delay_alu instid0(VALU_DEP_2) | instskip(SKIP_1) | instid1(VALU_DEP_3)
	v_fma_f64 v[18:19], v[76:77], v[84:85], -v[0:1]
	v_mul_f64 v[0:1], v[93:94], v[86:87]
	v_fma_f64 v[200:201], v[93:94], v[84:85], v[2:3]
	s_delay_alu instid0(VALU_DEP_2) | instskip(SKIP_1) | instid1(VALU_DEP_1)
	v_fma_f64 v[226:227], v[78:79], v[84:85], -v[0:1]
	v_mul_f64 v[0:1], v[76:77], v[86:87]
	v_fma_f64 v[79:80], v[91:92], v[84:85], v[0:1]
	global_load_b128 v[84:87], v4, s[8:9] offset:736
	ds_load_2addr_b64 v[91:94], v151 offset0:179 offset1:228
	scratch_store_b64 off, v[79:80], off offset:260 ; 8-byte Folded Spill
	s_waitcnt vmcnt(0) lgkmcnt(0)
	v_mul_f64 v[0:1], v[91:92], v[86:87]
	v_mul_f64 v[2:3], v[74:75], v[86:87]
	s_delay_alu instid0(VALU_DEP_2) | instskip(SKIP_1) | instid1(VALU_DEP_3)
	v_fma_f64 v[120:121], v[72:73], v[84:85], -v[0:1]
	v_mul_f64 v[0:1], v[93:94], v[86:87]
	v_fma_f64 v[214:215], v[93:94], v[84:85], v[2:3]
	s_clause 0x1
	scratch_store_b64 off, v[18:19], off offset:120
	scratch_store_b64 off, v[120:121], off offset:112
	v_fma_f64 v[77:78], v[74:75], v[84:85], -v[0:1]
	v_mul_f64 v[0:1], v[72:73], v[86:87]
	v_add_nc_u32_e32 v83, 0x2c00, v108
	s_delay_alu instid0(VALU_DEP_2) | instskip(SKIP_1) | instid1(VALU_DEP_1)
	v_fma_f64 v[236:237], v[91:92], v[84:85], v[0:1]
	v_and_b32_e32 v0, 0xff, v243
	v_mul_lo_u16 v0, 0x4f, v0
	s_delay_alu instid0(VALU_DEP_1) | instskip(NEXT) | instid1(VALU_DEP_1)
	v_lshrrev_b16 v0, 8, v0
	v_sub_nc_u16 v1, v243, v0
	s_delay_alu instid0(VALU_DEP_1) | instskip(NEXT) | instid1(VALU_DEP_1)
	v_lshrrev_b16 v1, 1, v1
	v_and_b32_e32 v1, 0x7f, v1
	s_delay_alu instid0(VALU_DEP_1) | instskip(NEXT) | instid1(VALU_DEP_1)
	v_add_nc_u16 v0, v1, v0
	v_lshrrev_b16 v0, 5, v0
	s_delay_alu instid0(VALU_DEP_1) | instskip(NEXT) | instid1(VALU_DEP_1)
	v_mul_lo_u16 v0, v0, 49
	v_sub_nc_u16 v0, v243, v0
	s_delay_alu instid0(VALU_DEP_1) | instskip(NEXT) | instid1(VALU_DEP_1)
	v_and_b32_e32 v74, 0xff, v0
	v_mul_u32_u24_e32 v0, 6, v74
	s_delay_alu instid0(VALU_DEP_1)
	v_lshlrev_b32_e32 v2, 4, v0
	s_clause 0x1
	global_load_b128 v[84:87], v2, s[8:9] offset:672
	global_load_b128 v[190:193], v2, s[8:9] offset:688
	s_waitcnt vmcnt(1)
	v_mul_f64 v[0:1], v[104:105], v[86:87]
	s_delay_alu instid0(VALU_DEP_1) | instskip(SKIP_2) | instid1(VALU_DEP_2)
	v_fma_f64 v[88:89], v[68:69], v[84:85], -v[0:1]
	v_mul_f64 v[0:1], v[68:69], v[86:87]
	v_add_nc_u32_e32 v147, 0x2800, v108
	v_fma_f64 v[254:255], v[104:105], v[84:85], v[0:1]
	scratch_load_b32 v0, off, off offset:188 ; 4-byte Folded Reload
	s_waitcnt vmcnt(0)
	v_mul_lo_u16 v0, 0x4f, v0
	s_delay_alu instid0(VALU_DEP_1) | instskip(NEXT) | instid1(VALU_DEP_1)
	v_lshrrev_b16 v0, 8, v0
	v_sub_nc_u16 v1, v150, v0
	s_delay_alu instid0(VALU_DEP_1) | instskip(NEXT) | instid1(VALU_DEP_1)
	v_lshrrev_b16 v1, 1, v1
	v_dual_mov_b32 v4, v208 :: v_dual_and_b32 v1, 0x7f, v1
	s_delay_alu instid0(VALU_DEP_1) | instskip(NEXT) | instid1(VALU_DEP_1)
	v_add_nc_u16 v0, v1, v0
	v_lshrrev_b16 v0, 5, v0
	s_delay_alu instid0(VALU_DEP_1) | instskip(NEXT) | instid1(VALU_DEP_1)
	v_mul_lo_u16 v0, v0, 49
	v_sub_nc_u16 v0, v150, v0
	s_delay_alu instid0(VALU_DEP_1) | instskip(NEXT) | instid1(VALU_DEP_1)
	v_and_b32_e32 v68, 0xff, v0
	v_mul_u32_u24_e32 v0, 6, v68
	s_delay_alu instid0(VALU_DEP_1)
	v_lshlrev_b32_e32 v3, 4, v0
	s_clause 0x1
	global_load_b128 v[84:87], v3, s[8:9] offset:672
	global_load_b128 v[109:112], v3, s[8:9] offset:688
	s_waitcnt vmcnt(1)
	v_mul_f64 v[0:1], v[106:107], v[86:87]
	s_delay_alu instid0(VALU_DEP_1) | instskip(SKIP_1) | instid1(VALU_DEP_1)
	v_fma_f64 v[183:184], v[70:71], v[84:85], -v[0:1]
	v_mul_f64 v[0:1], v[70:71], v[86:87]
	v_fma_f64 v[0:1], v[106:107], v[84:85], v[0:1]
	global_load_b128 v[84:87], v2, s[8:9] offset:704
	ds_load_2addr_b64 v[104:107], v208 offset0:103 offset1:152
	global_load_b128 v[206:209], v2, s[8:9] offset:720
	scratch_store_b64 off, v[0:1], off offset:128 ; 8-byte Folded Spill
	s_waitcnt vmcnt(1) lgkmcnt(0)
	v_mul_f64 v[0:1], v[104:105], v[86:87]
	s_delay_alu instid0(VALU_DEP_1) | instskip(SKIP_1) | instid1(VALU_DEP_1)
	v_fma_f64 v[92:93], v[64:65], v[84:85], -v[0:1]
	v_mul_f64 v[0:1], v[64:65], v[86:87]
	v_fma_f64 v[174:175], v[104:105], v[84:85], v[0:1]
	s_clause 0x1
	global_load_b128 v[84:87], v3, s[8:9] offset:704
	global_load_b128 v[122:125], v3, s[8:9] offset:720
	s_waitcnt vmcnt(1)
	v_mul_f64 v[0:1], v[106:107], v[86:87]
	s_delay_alu instid0(VALU_DEP_1)
	v_fma_f64 v[71:72], v[66:67], v[84:85], -v[0:1]
	v_mul_f64 v[0:1], v[66:67], v[86:87]
	s_clause 0x1
	global_load_b128 v[64:67], v2, s[8:9] offset:736
	global_load_b128 v[218:221], v2, s[8:9] offset:752
	v_mov_b32_e32 v155, v72
	v_fma_f64 v[248:249], v[106:107], v[84:85], v[0:1]
	ds_load_2addr_b64 v[84:87], v5 offset0:21 offset1:70
	s_waitcnt vmcnt(1) lgkmcnt(0)
	v_mul_f64 v[0:1], v[84:85], v[66:67]
	s_delay_alu instid0(VALU_DEP_1) | instskip(SKIP_2) | instid1(VALU_DEP_2)
	v_fma_f64 v[75:76], v[60:61], v[64:65], -v[0:1]
	v_mul_f64 v[0:1], v[60:61], v[66:67]
	v_add_nc_u32_e32 v185, 0x3c00, v108
	v_fma_f64 v[228:229], v[84:85], v[64:65], v[0:1]
	s_clause 0x1
	global_load_b128 v[64:67], v3, s[8:9] offset:736
	global_load_b128 v[141:144], v3, s[8:9] offset:752
	v_add_nc_u32_e32 v3, 0x1800, v108
	scratch_store_b32 off, v232, off offset:300 ; 4-byte Folded Spill
	s_waitcnt vmcnt(1)
	v_mul_f64 v[0:1], v[86:87], v[66:67]
	s_delay_alu instid0(VALU_DEP_1)
	v_fma_f64 v[171:172], v[62:63], v[64:65], -v[0:1]
	v_mul_f64 v[0:1], v[62:63], v[66:67]
	ds_load_2addr_b64 v[60:63], v3 offset0:65 offset1:114
	v_fma_f64 v[148:149], v[86:87], v[64:65], v[0:1]
	s_waitcnt lgkmcnt(0)
	v_mul_f64 v[0:1], v[60:61], v[111:112]
	s_delay_alu instid0(VALU_DEP_1) | instskip(SKIP_2) | instid1(VALU_DEP_2)
	v_fma_f64 v[234:235], v[56:57], v[109:110], -v[0:1]
	v_mul_f64 v[0:1], v[56:57], v[111:112]
	v_add_nc_u32_e32 v178, 0x1400, v108
	v_fma_f64 v[111:112], v[60:61], v[109:110], v[0:1]
	scratch_load_b32 v0, off, off offset:180 ; 4-byte Folded Reload
	s_waitcnt vmcnt(0)
	v_mul_lo_u16 v0, 0x4f, v0
	s_delay_alu instid0(VALU_DEP_1) | instskip(NEXT) | instid1(VALU_DEP_1)
	v_lshrrev_b16 v0, 8, v0
	v_sub_nc_u16 v1, v232, v0
	s_delay_alu instid0(VALU_DEP_1) | instskip(NEXT) | instid1(VALU_DEP_1)
	v_lshrrev_b16 v1, 1, v1
	v_and_b32_e32 v1, 0x7f, v1
	s_delay_alu instid0(VALU_DEP_1) | instskip(NEXT) | instid1(VALU_DEP_1)
	v_add_nc_u16 v0, v1, v0
	v_lshrrev_b16 v0, 5, v0
	s_delay_alu instid0(VALU_DEP_1) | instskip(NEXT) | instid1(VALU_DEP_1)
	v_mul_lo_u16 v0, v0, 49
	v_sub_nc_u16 v0, v232, v0
	s_delay_alu instid0(VALU_DEP_1) | instskip(NEXT) | instid1(VALU_DEP_1)
	v_and_b32_e32 v56, 0xff, v0
	v_mul_u32_u24_e32 v0, 6, v56
	s_delay_alu instid0(VALU_DEP_1)
	v_lshlrev_b32_e32 v2, 4, v0
	s_clause 0x1
	global_load_b128 v[64:67], v2, s[8:9] offset:688
	global_load_b128 v[84:87], v2, s[8:9] offset:672
	s_waitcnt vmcnt(1)
	v_mul_f64 v[0:1], v[62:63], v[66:67]
	s_delay_alu instid0(VALU_DEP_1)
	v_fma_f64 v[0:1], v[58:59], v[64:65], -v[0:1]
	scratch_store_b64 off, v[0:1], off offset:252 ; 8-byte Folded Spill
	v_mul_f64 v[0:1], v[58:59], v[66:67]
	ds_load_2addr_b64 v[57:60], v83 offset0:111 offset1:160
	v_dual_mov_b32 v66, v174 :: v_dual_mov_b32 v67, v175
	v_dual_mov_b32 v174, v254 :: v_dual_mov_b32 v175, v255
	v_fma_f64 v[0:1], v[62:63], v[64:65], v[0:1]
	scratch_store_b64 off, v[0:1], off offset:188 ; 8-byte Folded Spill
	s_clause 0x1
	global_load_b128 v[61:64], v2, s[8:9] offset:720
	global_load_b128 v[164:167], v2, s[8:9] offset:704
	s_waitcnt lgkmcnt(0)
	v_mul_f64 v[0:1], v[57:58], v[124:125]
	s_delay_alu instid0(VALU_DEP_1) | instskip(SKIP_2) | instid1(VALU_DEP_2)
	v_fma_f64 v[109:110], v[52:53], v[122:123], -v[0:1]
	v_mul_f64 v[0:1], v[52:53], v[124:125]
	v_add_nc_u32_e32 v232, 0x4400, v108
	v_fma_f64 v[240:241], v[57:58], v[122:123], v[0:1]
	v_add_nc_u32_e32 v122, 0x4000, v108
	s_waitcnt vmcnt(1)
	v_mul_f64 v[0:1], v[59:60], v[63:64]
	s_delay_alu instid0(VALU_DEP_1)
	v_fma_f64 v[181:182], v[54:55], v[61:62], -v[0:1]
	v_mul_f64 v[0:1], v[54:55], v[63:64]
	ds_load_2addr_b64 v[52:55], v122 offset0:157 offset1:206
	v_fma_f64 v[0:1], v[59:60], v[61:62], v[0:1]
	scratch_store_b64 off, v[0:1], off offset:276 ; 8-byte Folded Spill
	s_clause 0x1
	global_load_b128 v[57:60], v2, s[8:9] offset:752
	global_load_b128 v[61:64], v2, s[8:9] offset:736
	scratch_load_b32 v2, off, off offset:144 ; 4-byte Folded Reload
	s_waitcnt lgkmcnt(0)
	v_mul_f64 v[0:1], v[52:53], v[143:144]
	s_delay_alu instid0(VALU_DEP_1) | instskip(SKIP_1) | instid1(VALU_DEP_1)
	v_fma_f64 v[81:82], v[48:49], v[141:142], -v[0:1]
	v_mul_f64 v[0:1], v[48:49], v[143:144]
	v_fma_f64 v[138:139], v[52:53], v[141:142], v[0:1]
	s_waitcnt vmcnt(2)
	v_mul_f64 v[0:1], v[54:55], v[59:60]
	s_delay_alu instid0(VALU_DEP_1)
	v_fma_f64 v[216:217], v[50:51], v[57:58], -v[0:1]
	v_mul_f64 v[0:1], v[50:51], v[59:60]
	ds_load_2addr_b64 v[48:51], v242 offset0:27 offset1:76
	v_fma_f64 v[252:253], v[54:55], v[57:58], v[0:1]
	s_waitcnt lgkmcnt(0)
	v_mul_f64 v[0:1], v[48:49], v[86:87]
	s_delay_alu instid0(VALU_DEP_1) | instskip(SKIP_1) | instid1(VALU_DEP_1)
	v_fma_f64 v[176:177], v[44:45], v[84:85], -v[0:1]
	v_mul_f64 v[0:1], v[44:45], v[86:87]
	v_fma_f64 v[168:169], v[48:49], v[84:85], v[0:1]
	s_waitcnt vmcnt(0)
	v_and_b32_e32 v0, 0xffff, v2
	s_delay_alu instid0(VALU_DEP_1) | instskip(NEXT) | instid1(VALU_DEP_1)
	v_mul_u32_u24_e32 v0, 0x4e5f, v0
	v_lshrrev_b32_e32 v0, 16, v0
	s_delay_alu instid0(VALU_DEP_1) | instskip(NEXT) | instid1(VALU_DEP_1)
	v_sub_nc_u16 v1, v2, v0
	v_lshrrev_b16 v1, 1, v1
	s_delay_alu instid0(VALU_DEP_1) | instskip(NEXT) | instid1(VALU_DEP_1)
	v_add_nc_u16 v0, v1, v0
	v_lshrrev_b16 v0, 5, v0
	s_delay_alu instid0(VALU_DEP_1) | instskip(NEXT) | instid1(VALU_DEP_1)
	v_mul_lo_u16 v0, v0, 49
	v_sub_nc_u16 v0, v2, v0
	s_delay_alu instid0(VALU_DEP_1) | instskip(NEXT) | instid1(VALU_DEP_1)
	v_and_b32_e32 v44, 0xffff, v0
	v_mul_u32_u24_e32 v0, 6, v44
	s_delay_alu instid0(VALU_DEP_1)
	v_lshlrev_b32_e32 v2, 4, v0
	s_clause 0x1
	global_load_b128 v[52:55], v2, s[8:9] offset:672
	global_load_b128 v[57:60], v2, s[8:9] offset:688
	s_waitcnt vmcnt(1)
	v_mul_f64 v[0:1], v[50:51], v[54:55]
	s_delay_alu instid0(VALU_DEP_1)
	v_fma_f64 v[0:1], v[46:47], v[52:53], -v[0:1]
	scratch_store_b64 off, v[0:1], off offset:244 ; 8-byte Folded Spill
	v_mul_f64 v[0:1], v[46:47], v[54:55]
	ds_load_2addr_b64 v[45:48], v4 offset0:201 offset1:250
	v_fma_f64 v[0:1], v[50:51], v[52:53], v[0:1]
	scratch_store_b64 off, v[0:1], off offset:180 ; 8-byte Folded Spill
	s_clause 0x1
	global_load_b128 v[49:52], v2, s[8:9] offset:704
	global_load_b128 v[210:213], v2, s[8:9] offset:720
	s_waitcnt lgkmcnt(0)
	v_mul_f64 v[0:1], v[45:46], v[166:167]
	s_delay_alu instid0(VALU_DEP_1) | instskip(SKIP_1) | instid1(VALU_DEP_1)
	v_fma_f64 v[53:54], v[40:41], v[164:165], -v[0:1]
	v_mul_f64 v[0:1], v[40:41], v[166:167]
	v_fma_f64 v[124:125], v[45:46], v[164:165], v[0:1]
	s_waitcnt vmcnt(1)
	v_mul_f64 v[0:1], v[47:48], v[51:52]
	s_delay_alu instid0(VALU_DEP_1)
	v_fma_f64 v[230:231], v[42:43], v[49:50], -v[0:1]
	v_mul_f64 v[0:1], v[42:43], v[51:52]
	ds_load_2addr_b64 v[40:43], v5 offset0:119 offset1:168
	v_fma_f64 v[0:1], v[47:48], v[49:50], v[0:1]
	scratch_store_b64 off, v[0:1], off offset:268 ; 8-byte Folded Spill
	s_clause 0x1
	global_load_b128 v[45:48], v2, s[8:9] offset:736
	global_load_b128 v[49:52], v2, s[8:9] offset:752
	s_waitcnt lgkmcnt(0)
	v_mul_f64 v[0:1], v[40:41], v[63:64]
	scratch_store_b32 off, v161, off offset:404 ; 4-byte Folded Spill
	v_fma_f64 v[144:145], v[36:37], v[61:62], -v[0:1]
	v_mul_f64 v[0:1], v[36:37], v[63:64]
	v_mov_b32_e32 v154, v71
	s_delay_alu instid0(VALU_DEP_2) | instskip(SKIP_2) | instid1(VALU_DEP_1)
	v_fma_f64 v[140:141], v[40:41], v[61:62], v[0:1]
	s_waitcnt vmcnt(1)
	v_mul_f64 v[0:1], v[42:43], v[47:48]
	v_fma_f64 v[166:167], v[38:39], v[45:46], -v[0:1]
	v_mul_f64 v[0:1], v[38:39], v[47:48]
	ds_load_2addr_b64 v[36:39], v178 offset0:95 offset1:144
	v_fma_f64 v[142:143], v[42:43], v[45:46], v[0:1]
	s_waitcnt lgkmcnt(0)
	v_mul_f64 v[0:1], v[38:39], v[192:193]
	s_delay_alu instid0(VALU_DEP_1) | instskip(SKIP_1) | instid1(VALU_DEP_1)
	v_fma_f64 v[224:225], v[34:35], v[190:191], -v[0:1]
	v_mul_f64 v[0:1], v[34:35], v[192:193]
	v_fma_f64 v[94:95], v[38:39], v[190:191], v[0:1]
	v_mul_f64 v[0:1], v[36:37], v[134:135]
	s_delay_alu instid0(VALU_DEP_1) | instskip(SKIP_1) | instid1(VALU_DEP_1)
	v_fma_f64 v[238:239], v[32:33], v[132:133], -v[0:1]
	v_mul_f64 v[0:1], v[32:33], v[134:135]
	v_fma_f64 v[136:137], v[36:37], v[132:133], v[0:1]
	ds_load_2addr_b64 v[36:39], v242 offset0:125 offset1:174
	s_waitcnt lgkmcnt(0)
	v_mul_f64 v[0:1], v[38:39], v[134:135]
	s_delay_alu instid0(VALU_DEP_1) | instskip(SKIP_1) | instid1(VALU_DEP_1)
	v_fma_f64 v[126:127], v[26:27], v[132:133], -v[0:1]
	v_mul_f64 v[0:1], v[26:27], v[134:135]
	v_fma_f64 v[118:119], v[38:39], v[132:133], v[0:1]
	scratch_load_b32 v0, off, off offset:172 ; 4-byte Folded Reload
	s_waitcnt vmcnt(0)
	v_mul_u32_u24_e32 v0, 0x4e5f, v0
	s_delay_alu instid0(VALU_DEP_1) | instskip(NEXT) | instid1(VALU_DEP_1)
	v_lshrrev_b32_e32 v0, 16, v0
	v_sub_nc_u16 v1, v161, v0
	s_delay_alu instid0(VALU_DEP_1) | instskip(NEXT) | instid1(VALU_DEP_1)
	v_lshrrev_b16 v1, 1, v1
	v_add_nc_u16 v0, v1, v0
	s_delay_alu instid0(VALU_DEP_1) | instskip(NEXT) | instid1(VALU_DEP_1)
	v_lshrrev_b16 v0, 5, v0
	v_mul_lo_u16 v0, v0, 49
	s_delay_alu instid0(VALU_DEP_1) | instskip(SKIP_2) | instid1(VALU_DEP_3)
	v_sub_nc_u16 v0, v161, v0
	v_dual_mov_b32 v162, v89 :: v_dual_mov_b32 v161, v88
	v_dual_mov_b32 v89, v76 :: v_dual_mov_b32 v88, v75
	v_and_b32_e32 v45, 0xffff, v0
	s_delay_alu instid0(VALU_DEP_1) | instskip(NEXT) | instid1(VALU_DEP_1)
	v_mul_u32_u24_e32 v0, 6, v45
	v_lshlrev_b32_e32 v4, 4, v0
	s_clause 0x1
	global_load_b128 v[38:41], v4, s[8:9] offset:672
	global_load_b128 v[61:64], v4, s[8:9] offset:688
	s_waitcnt vmcnt(1)
	v_mul_f64 v[0:1], v[36:37], v[40:41]
	s_delay_alu instid0(VALU_DEP_1)
	v_fma_f64 v[222:223], v[24:25], v[38:39], -v[0:1]
	v_mul_f64 v[0:1], v[24:25], v[40:41]
	ds_load_2addr_b64 v[24:27], v3 offset0:163 offset1:212
	v_fma_f64 v[0:1], v[36:37], v[38:39], v[0:1]
	scratch_store_b64 off, v[0:1], off offset:172 ; 8-byte Folded Spill
	s_waitcnt lgkmcnt(0)
	v_mul_f64 v[0:1], v[24:25], v[59:60]
	s_delay_alu instid0(VALU_DEP_1) | instskip(SKIP_1) | instid1(VALU_DEP_2)
	v_fma_f64 v[34:35], v[28:29], v[57:58], -v[0:1]
	v_mul_f64 v[0:1], v[28:29], v[59:60]
	v_mov_b32_e32 v255, v35
	s_delay_alu instid0(VALU_DEP_2) | instskip(SKIP_2) | instid1(VALU_DEP_1)
	v_fma_f64 v[57:58], v[24:25], v[57:58], v[0:1]
	s_waitcnt vmcnt(0)
	v_mul_f64 v[0:1], v[26:27], v[63:64]
	v_fma_f64 v[0:1], v[30:31], v[61:62], -v[0:1]
	scratch_store_b64 off, v[0:1], off offset:292 ; 8-byte Folded Spill
	v_mul_f64 v[0:1], v[30:31], v[63:64]
	s_delay_alu instid0(VALU_DEP_1) | instskip(SKIP_4) | instid1(VALU_DEP_1)
	v_fma_f64 v[0:1], v[26:27], v[61:62], v[0:1]
	ds_load_2addr_b64 v[24:27], v147 offset0:141 offset1:190
	scratch_store_b64 off, v[0:1], off offset:284 ; 8-byte Folded Spill
	s_waitcnt lgkmcnt(0)
	v_mul_f64 v[0:1], v[26:27], v[208:209]
	v_fma_f64 v[63:64], v[14:15], v[206:207], -v[0:1]
	v_mul_f64 v[0:1], v[14:15], v[208:209]
	v_add_nc_u32_e32 v123, 0xc00, v108
	s_delay_alu instid0(VALU_DEP_2) | instskip(SKIP_1) | instid1(VALU_DEP_1)
	v_fma_f64 v[206:207], v[26:27], v[206:207], v[0:1]
	v_mul_f64 v[0:1], v[24:25], v[188:189]
	v_fma_f64 v[22:23], v[12:13], v[186:187], -v[0:1]
	v_mul_f64 v[0:1], v[12:13], v[188:189]
	s_delay_alu instid0(VALU_DEP_1) | instskip(SKIP_3) | instid1(VALU_DEP_1)
	v_fma_f64 v[20:21], v[24:25], v[186:187], v[0:1]
	ds_load_2addr_b64 v[24:27], v147 offset0:43 offset1:92
	s_waitcnt lgkmcnt(0)
	v_mul_f64 v[0:1], v[26:27], v[188:189]
	v_fma_f64 v[104:105], v[102:103], v[186:187], -v[0:1]
	v_mul_f64 v[0:1], v[102:103], v[188:189]
	s_delay_alu instid0(VALU_DEP_1)
	v_fma_f64 v[84:85], v[26:27], v[186:187], v[0:1]
	s_clause 0x1
	global_load_b128 v[26:29], v4, s[8:9] offset:704
	global_load_b128 v[36:39], v4, s[8:9] offset:720
	ds_load_2addr_b64 v[12:15], v151 offset0:81 offset1:130
	v_dual_mov_b32 v150, v181 :: v_dual_mov_b32 v151, v182
	v_dual_mov_b32 v182, v125 :: v_dual_mov_b32 v181, v124
	s_waitcnt vmcnt(1)
	v_mul_f64 v[0:1], v[24:25], v[28:29]
	s_delay_alu instid0(VALU_DEP_1) | instskip(SKIP_2) | instid1(VALU_DEP_2)
	v_fma_f64 v[32:33], v[100:101], v[26:27], -v[0:1]
	v_mul_f64 v[0:1], v[100:101], v[28:29]
	v_dual_mov_b32 v70, v230 :: v_dual_mov_b32 v71, v231
	v_fma_f64 v[186:187], v[24:25], v[26:27], v[0:1]
	s_waitcnt lgkmcnt(0)
	v_mul_f64 v[0:1], v[12:13], v[212:213]
	s_delay_alu instid0(VALU_DEP_1) | instskip(SKIP_2) | instid1(VALU_DEP_2)
	v_fma_f64 v[164:165], v[96:97], v[210:211], -v[0:1]
	v_mul_f64 v[0:1], v[96:97], v[212:213]
	v_lshl_add_u32 v96, v68, 3, 0
	v_fma_f64 v[188:189], v[12:13], v[210:211], v[0:1]
	s_waitcnt vmcnt(0)
	v_mul_f64 v[0:1], v[14:15], v[38:39]
	v_mov_b32_e32 v211, v95
	s_delay_alu instid0(VALU_DEP_2) | instskip(SKIP_1) | instid1(VALU_DEP_1)
	v_fma_f64 v[250:251], v[98:99], v[36:37], -v[0:1]
	v_mul_f64 v[0:1], v[98:99], v[38:39]
	v_fma_f64 v[60:61], v[14:15], v[36:37], v[0:1]
	ds_load_2addr_b64 v[12:15], v122 offset0:59 offset1:108
	s_waitcnt lgkmcnt(0)
	v_mul_f64 v[0:1], v[14:15], v[220:221]
	s_delay_alu instid0(VALU_DEP_1) | instskip(SKIP_3) | instid1(VALU_DEP_3)
	v_fma_f64 v[212:213], v[115:116], v[218:219], -v[0:1]
	v_mul_f64 v[0:1], v[115:116], v[220:221]
	v_dual_mov_b32 v221, v78 :: v_dual_mov_b32 v220, v77
	v_dual_mov_b32 v77, v54 :: v_dual_mov_b32 v76, v53
	v_fma_f64 v[132:133], v[14:15], v[218:219], v[0:1]
	v_mul_f64 v[0:1], v[12:13], v[204:205]
	v_mov_b32_e32 v219, v195
	v_lshl_add_u32 v91, v74, 3, 0
	v_dual_mov_b32 v74, v216 :: v_dual_mov_b32 v75, v217
	v_dual_mov_b32 v217, v145 :: v_dual_mov_b32 v216, v144
	v_mov_b32_e32 v218, v194
	v_mov_b32_e32 v210, v94
	v_dual_mov_b32 v195, v58 :: v_dual_mov_b32 v194, v57
	v_fma_f64 v[10:11], v[113:114], v[202:203], -v[0:1]
	v_mul_f64 v[0:1], v[113:114], v[204:205]
	s_delay_alu instid0(VALU_DEP_1) | instskip(SKIP_3) | instid1(VALU_DEP_1)
	v_fma_f64 v[8:9], v[12:13], v[202:203], v[0:1]
	ds_load_2addr_b64 v[12:15], v185 offset0:89 offset1:138
	s_waitcnt lgkmcnt(0)
	v_mul_f64 v[0:1], v[14:15], v[204:205]
	v_fma_f64 v[86:87], v[158:159], v[202:203], -v[0:1]
	v_mul_f64 v[0:1], v[158:159], v[204:205]
	s_delay_alu instid0(VALU_DEP_2) | instskip(NEXT) | instid1(VALU_DEP_2)
	v_add_f64 v[6:7], v[6:7], v[86:87]
	v_fma_f64 v[2:3], v[14:15], v[202:203], v[0:1]
	s_clause 0x1
	global_load_b128 v[14:17], v4, s[8:9] offset:736
	global_load_b128 v[24:27], v4, s[8:9] offset:752
	s_clause 0x4
	scratch_load_b32 v62, off, off
	scratch_load_b32 v65, off, off offset:4
	scratch_load_b32 v90, off, off offset:136
	;; [unrolled: 1-line block ×4, first 2 shown]
	v_mov_b32_e32 v203, v133
	v_lshl_add_u32 v98, v44, 3, 0
	v_dual_mov_b32 v68, v166 :: v_dual_mov_b32 v69, v167
	v_mov_b32_e32 v202, v132
	s_delay_alu instid0(VALU_DEP_3)
	v_dual_mov_b32 v254, v34 :: v_dual_add_nc_u32 v135, 0x3800, v98
	v_dual_mov_b32 v34, v142 :: v_dual_mov_b32 v35, v143
	v_add_nc_u32_e32 v173, 0x3000, v98
	v_add_f64 v[30:31], v[179:180], -v[2:3]
	s_waitcnt vmcnt(6)
	v_mul_f64 v[0:1], v[12:13], v[16:17]
	s_waitcnt vmcnt(2)
	ds_load_b64 v[204:205], v90
	s_waitcnt vmcnt(1)
	ds_load_b64 v[246:247], v163
	v_fma_f64 v[190:191], v[156:157], v[14:15], -v[0:1]
	v_mul_f64 v[0:1], v[156:157], v[16:17]
	v_dual_mov_b32 v156, v234 :: v_dual_mov_b32 v157, v235
	v_dual_mov_b32 v235, v112 :: v_dual_mov_b32 v234, v111
	v_add_nc_u32_e32 v111, 0x2000, v96
	s_delay_alu instid0(VALU_DEP_4) | instskip(SKIP_3) | instid1(VALU_DEP_1)
	v_fma_f64 v[152:153], v[12:13], v[14:15], v[0:1]
	ds_load_2addr_b64 v[12:15], v232 offset0:127 offset1:176
	s_waitcnt lgkmcnt(0)
	v_mul_f64 v[0:1], v[12:13], v[51:52]
	v_fma_f64 v[208:209], v[128:129], v[49:50], -v[0:1]
	v_mul_f64 v[0:1], v[128:129], v[51:52]
	v_dual_mov_b32 v128, v179 :: v_dual_mov_b32 v129, v180
	v_dual_mov_b32 v180, v33 :: v_dual_mov_b32 v179, v32
	s_delay_alu instid0(VALU_DEP_2) | instskip(NEXT) | instid1(VALU_DEP_4)
	v_add_f64 v[2:3], v[128:129], v[2:3]
	v_fma_f64 v[113:114], v[12:13], v[49:50], v[0:1]
	v_mul_f64 v[0:1], v[14:15], v[26:27]
	v_add_f64 v[12:13], v[126:127], v[120:121]
	v_dual_mov_b32 v158, v252 :: v_dual_mov_b32 v159, v253
	v_mov_b32_e32 v253, v251
	s_delay_alu instid0(VALU_DEP_4)
	v_fma_f64 v[99:100], v[130:131], v[24:25], -v[0:1]
	v_mul_f64 v[0:1], v[130:131], v[26:27]
	v_add_f64 v[4:5], v[12:13], v[6:7]
	v_add_f64 v[26:27], v[118:119], -v[236:237]
	v_dual_mov_b32 v130, v236 :: v_dual_mov_b32 v131, v237
	v_dual_mov_b32 v237, v64 :: v_dual_mov_b32 v236, v63
	v_lshl_add_u32 v97, v56, 3, 0
	s_delay_alu instid0(VALU_DEP_1) | instskip(SKIP_4) | instid1(VALU_DEP_3)
	v_add_nc_u32_e32 v125, 0x2800, v97
	v_dual_mov_b32 v193, v100 :: v_dual_add_nc_u32 v134, 0x3000, v97
	v_fma_f64 v[101:102], v[14:15], v[24:25], v[0:1]
	v_add_f64 v[0:1], v[18:19], v[104:105]
	v_dual_mov_b32 v106, v113 :: v_dual_mov_b32 v107, v114
	v_dual_mov_b32 v192, v99 :: v_dual_mov_b32 v121, v102
	s_delay_alu instid0(VALU_DEP_3)
	v_add_f64 v[4:5], v[0:1], v[4:5]
	v_add_f64 v[16:17], v[6:7], -v[0:1]
	v_add_f64 v[14:15], v[0:1], -v[12:13]
	scratch_load_b64 v[0:1], off, off offset:236 ; 8-byte Folded Reload
	v_add_f64 v[6:7], v[12:13], -v[6:7]
	v_add_f64 v[12:13], v[26:27], -v[30:31]
	v_mov_b32_e32 v120, v101
	v_mul_f64 v[18:19], v[16:17], s[18:19]
	s_waitcnt vmcnt(0)
	v_add_f64 v[24:25], v[0:1], v[4:5]
	v_add_f64 v[0:1], v[84:85], -v[79:80]
	scratch_load_b32 v80, off, off offset:20 ; 4-byte Folded Reload
	ds_load_b64 v[244:245], v65
	v_dual_mov_b32 v78, v183 :: v_dual_mov_b32 v79, v184
	v_fma_f64 v[38:39], v[4:5], s[20:21], v[24:25]
	v_add_f64 v[36:37], v[0:1], -v[26:27]
	v_add_f64 v[16:17], v[0:1], v[26:27]
	v_add_f64 v[28:29], v[30:31], -v[0:1]
	v_fma_f64 v[0:1], v[14:15], s[24:25], v[18:19]
	ds_load_b64 v[4:5], v62
	v_mul_f64 v[14:15], v[14:15], s[24:25]
	v_add_f64 v[26:27], v[20:21], -v[200:201]
	v_mul_f64 v[36:37], v[36:37], s[22:23]
	v_add_f64 v[16:17], v[16:17], v[30:31]
	v_add_f64 v[40:41], v[0:1], v[38:39]
	v_fma_f64 v[14:15], v[6:7], s[4:5], -v[14:15]
	v_fma_f64 v[6:7], v[6:7], s[16:17], -v[18:19]
	v_mul_f64 v[18:19], v[12:13], s[2:3]
	v_fma_f64 v[0:1], v[28:29], s[10:11], v[36:37]
	v_fma_f64 v[12:13], v[12:13], s[2:3], -v[36:37]
	v_add_f64 v[14:15], v[14:15], v[38:39]
	v_add_f64 v[6:7], v[6:7], v[38:39]
	v_fma_f64 v[18:19], v[28:29], s[14:15], -v[18:19]
	v_add_f64 v[28:29], v[218:219], -v[8:9]
	v_fma_f64 v[42:43], v[16:17], s[0:1], v[0:1]
	ds_load_b64 v[0:1], v108
	v_fma_f64 v[12:13], v[16:17], s[0:1], v[12:13]
	v_fma_f64 v[18:19], v[16:17], s[0:1], v[18:19]
	s_delay_alu instid0(VALU_DEP_1)
	v_add_f64 v[16:17], v[18:19], v[6:7]
	v_add_f64 v[6:7], v[6:7], -v[18:19]
	s_waitcnt vmcnt(0)
	ds_load_b64 v[46:47], v80
	v_dual_mov_b32 v252, v250 :: v_dual_mov_b32 v251, v187
	v_dual_mov_b32 v250, v186 :: v_dual_mov_b32 v187, v61
	v_mov_b32_e32 v186, v60
	s_waitcnt lgkmcnt(0)
	scratch_store_b64 off, v[46:47], off offset:64 ; 8-byte Folded Spill
	ds_load_b64 v[46:47], v170
	s_waitcnt lgkmcnt(0)
	scratch_store_b64 off, v[46:47], off offset:48 ; 8-byte Folded Spill
	s_waitcnt_vscnt null, 0x0
	s_barrier
	buffer_gl0_inv
	s_clause 0x1
	scratch_load_b64 v[115:116], off, off offset:80
	scratch_load_b64 v[144:145], off, off offset:172
	v_add_f64 v[46:47], v[42:43], v[40:41]
	s_clause 0x5
	scratch_load_b64 v[72:73], off, off offset:252
	scratch_load_b64 v[166:167], off, off offset:292
	;; [unrolled: 1-line block ×6, first 2 shown]
	ds_store_2addr_b64 v108, v[24:25], v[46:47] offset1:49
	v_add_f64 v[24:25], v[14:15], -v[12:13]
	v_add_f64 v[12:13], v[12:13], v[14:15]
	v_add_f64 v[14:15], v[238:239], v[220:221]
	ds_store_2addr_b64 v108, v[16:17], v[24:25] offset0:98 offset1:147
	ds_store_2addr_b64 v108, v[12:13], v[6:7] offset0:196 offset1:245
	v_add_f64 v[16:17], v[226:227], v[22:23]
	v_add_f64 v[6:7], v[40:41], -v[42:43]
	s_waitcnt vmcnt(7)
	v_add_f64 v[12:13], v[115:116], v[10:11]
	s_delay_alu instid0(VALU_DEP_1) | instskip(SKIP_3) | instid1(VALU_DEP_4)
	v_add_f64 v[18:19], v[14:15], v[12:13]
	v_add_f64 v[24:25], v[14:15], -v[12:13]
	v_add_f64 v[12:13], v[12:13], -v[16:17]
	;; [unrolled: 1-line block ×3, first 2 shown]
	v_add_f64 v[16:17], v[16:17], v[18:19]
	v_add_f64 v[18:19], v[136:137], -v[214:215]
	s_delay_alu instid0(VALU_DEP_4) | instskip(NEXT) | instid1(VALU_DEP_2)
	v_mul_f64 v[12:13], v[12:13], s[18:19]
	v_add_f64 v[30:31], v[26:27], v[18:19]
	v_add_f64 v[36:37], v[26:27], -v[18:19]
	v_add_f64 v[26:27], v[28:29], -v[26:27]
	;; [unrolled: 1-line block ×3, first 2 shown]
	s_delay_alu instid0(VALU_DEP_4)
	v_add_f64 v[28:29], v[30:31], v[28:29]
	scratch_load_b64 v[30:31], off, off offset:228 ; 8-byte Folded Reload
	s_waitcnt vmcnt(0)
	v_add_f64 v[30:31], v[30:31], v[16:17]
	ds_store_2addr_b64 v160, v[6:7], v[30:31] offset0:38 offset1:87
	v_fma_f64 v[6:7], v[16:17], s[20:21], v[30:31]
	v_fma_f64 v[30:31], v[14:15], s[24:25], v[12:13]
	v_mul_f64 v[14:15], v[14:15], s[24:25]
	v_fma_f64 v[12:13], v[24:25], s[16:17], -v[12:13]
	v_mul_f64 v[16:17], v[36:37], s[22:23]
	v_mul_f64 v[36:37], v[18:19], s[2:3]
	v_add_f64 v[30:31], v[30:31], v[6:7]
	v_fma_f64 v[14:15], v[24:25], s[4:5], -v[14:15]
	scratch_load_b64 v[24:25], off, off offset:220 ; 8-byte Folded Reload
	v_add_f64 v[12:13], v[12:13], v[6:7]
	v_fma_f64 v[36:37], v[26:27], s[14:15], -v[36:37]
	v_fma_f64 v[26:27], v[26:27], s[10:11], v[16:17]
	v_fma_f64 v[16:17], v[18:19], s[2:3], -v[16:17]
	v_add_f64 v[6:7], v[14:15], v[6:7]
	s_delay_alu instid0(VALU_DEP_4) | instskip(NEXT) | instid1(VALU_DEP_4)
	v_fma_f64 v[36:37], v[28:29], s[0:1], v[36:37]
	v_fma_f64 v[26:27], v[28:29], s[0:1], v[26:27]
	s_delay_alu instid0(VALU_DEP_4) | instskip(NEXT) | instid1(VALU_DEP_3)
	v_fma_f64 v[14:15], v[28:29], s[0:1], v[16:17]
	v_add_f64 v[40:41], v[36:37], v[12:13]
	s_delay_alu instid0(VALU_DEP_3) | instskip(NEXT) | instid1(VALU_DEP_3)
	v_add_f64 v[38:39], v[26:27], v[30:31]
	v_add_f64 v[16:17], v[6:7], -v[14:15]
	v_add_f64 v[6:7], v[14:15], v[6:7]
	v_add_f64 v[14:15], v[92:93], v[63:64]
	scratch_load_b64 v[63:64], off, off offset:276 ; 8-byte Folded Reload
	ds_store_2addr_b64 v160, v[38:39], v[40:41] offset0:136 offset1:185
	ds_store_2addr_b64 v123, v[16:17], v[6:7] offset0:106 offset1:155
	v_add_f64 v[6:7], v[12:13], -v[36:37]
	v_add_f64 v[12:13], v[30:31], -v[26:27]
	;; [unrolled: 1-line block ×4, first 2 shown]
	v_add_nc_u32_e32 v132, 0x1000, v91
	v_dual_mov_b32 v94, v109 :: v_dual_add_nc_u32 v133, 0x1800, v91
	v_mov_b32_e32 v95, v110
	scratch_load_b64 v[109:110], off, off offset:188 ; 8-byte Folded Reload
	ds_store_2addr_b64 v242, v[6:7], v[12:13] offset0:76 offset1:125
	v_add_f64 v[6:7], v[161:162], v[212:213]
	v_add_f64 v[12:13], v[224:225], v[88:89]
	v_mov_b32_e32 v243, v149
	v_add_f64 v[28:29], v[206:207], -v[66:67]
	v_mov_b32_e32 v242, v148
	v_dual_mov_b32 v148, v248 :: v_dual_mov_b32 v149, v249
	scratch_load_b64 v[248:249], off, off offset:128 ; 8-byte Folded Reload
	v_add_f64 v[18:19], v[6:7], -v[14:15]
	v_add_f64 v[16:17], v[12:13], v[6:7]
	v_add_f64 v[6:7], v[12:13], -v[6:7]
	v_add_f64 v[38:39], v[28:29], -v[26:27]
	v_add_f64 v[36:37], v[28:29], v[26:27]
	v_add_f64 v[28:29], v[30:31], -v[28:29]
	v_mul_f64 v[18:19], v[18:19], s[18:19]
	v_add_f64 v[16:17], v[14:15], v[16:17]
	v_add_f64 v[14:15], v[14:15], -v[12:13]
	v_mul_f64 v[38:39], v[38:39], s[22:23]
	v_add_f64 v[12:13], v[26:27], -v[30:31]
	v_add_f64 v[36:37], v[36:37], v[30:31]
	v_add_f64 v[26:27], v[234:235], -v[242:243]
	v_fma_f64 v[40:41], v[14:15], s[24:25], v[18:19]
	v_mul_f64 v[14:15], v[14:15], s[24:25]
	v_fma_f64 v[42:43], v[28:29], s[10:11], v[38:39]
	s_delay_alu instid0(VALU_DEP_2) | instskip(SKIP_2) | instid1(VALU_DEP_4)
	v_fma_f64 v[14:15], v[6:7], s[4:5], -v[14:15]
	v_fma_f64 v[6:7], v[6:7], s[16:17], -v[18:19]
	v_mul_f64 v[18:19], v[12:13], s[2:3]
	v_fma_f64 v[42:43], v[36:37], s[0:1], v[42:43]
	v_fma_f64 v[12:13], v[12:13], s[2:3], -v[38:39]
	s_waitcnt vmcnt(3)
	v_add_f64 v[24:25], v[24:25], v[16:17]
	s_delay_alu instid0(VALU_DEP_4) | instskip(SKIP_1) | instid1(VALU_DEP_4)
	v_fma_f64 v[18:19], v[28:29], s[14:15], -v[18:19]
	v_add_f64 v[28:29], v[240:241], -v[148:149]
	v_fma_f64 v[12:13], v[36:37], s[0:1], v[12:13]
	s_delay_alu instid0(VALU_DEP_4) | instskip(NEXT) | instid1(VALU_DEP_3)
	v_fma_f64 v[16:17], v[16:17], s[20:21], v[24:25]
	v_add_f64 v[38:39], v[28:29], -v[26:27]
	s_delay_alu instid0(VALU_DEP_2)
	v_add_f64 v[40:41], v[40:41], v[16:17]
	v_add_f64 v[14:15], v[14:15], v[16:17]
	v_add_f64 v[6:7], v[6:7], v[16:17]
	v_fma_f64 v[16:17], v[36:37], s[0:1], v[18:19]
	v_add_f64 v[36:37], v[28:29], v[26:27]
	v_mul_f64 v[38:39], v[38:39], s[22:23]
	v_add_f64 v[46:47], v[42:43], v[40:41]
	s_delay_alu instid0(VALU_DEP_4)
	v_add_f64 v[18:19], v[16:17], v[6:7]
	v_add_f64 v[6:7], v[6:7], -v[16:17]
	ds_store_2addr_b64 v132, v[24:25], v[46:47] offset0:174 offset1:223
	v_add_f64 v[24:25], v[14:15], -v[12:13]
	v_add_f64 v[12:13], v[12:13], v[14:15]
	v_add_f64 v[14:15], v[154:155], v[94:95]
	s_waitcnt vmcnt(0)
	v_add_f64 v[30:31], v[248:249], -v[138:139]
	ds_store_2addr_b64 v133, v[18:19], v[24:25] offset0:16 offset1:65
	scratch_load_b64 v[24:25], off, off offset:212 ; 8-byte Folded Reload
	ds_store_2addr_b64 v133, v[12:13], v[6:7] offset0:114 offset1:163
	v_add_f64 v[6:7], v[78:79], v[81:82]
	v_add_f64 v[12:13], v[156:157], v[171:172]
	v_add_f64 v[28:29], v[30:31], -v[28:29]
	v_add_f64 v[36:37], v[36:37], v[30:31]
	s_delay_alu instid0(VALU_DEP_4) | instskip(NEXT) | instid1(VALU_DEP_4)
	v_add_f64 v[18:19], v[6:7], -v[14:15]
	v_add_f64 v[16:17], v[12:13], v[6:7]
	v_add_f64 v[6:7], v[12:13], -v[6:7]
	v_fma_f64 v[48:49], v[28:29], s[10:11], v[38:39]
	s_delay_alu instid0(VALU_DEP_4) | instskip(NEXT) | instid1(VALU_DEP_4)
	v_mul_f64 v[18:19], v[18:19], s[18:19]
	v_add_f64 v[16:17], v[14:15], v[16:17]
	v_add_f64 v[14:15], v[14:15], -v[12:13]
	v_add_f64 v[12:13], v[26:27], -v[30:31]
	;; [unrolled: 1-line block ×4, first 2 shown]
	v_fma_f64 v[48:49], v[36:37], s[0:1], v[48:49]
	v_fma_f64 v[46:47], v[14:15], s[24:25], v[18:19]
	v_mul_f64 v[14:15], v[14:15], s[24:25]
	s_delay_alu instid0(VALU_DEP_1) | instskip(SKIP_3) | instid1(VALU_DEP_2)
	v_fma_f64 v[14:15], v[6:7], s[4:5], -v[14:15]
	v_fma_f64 v[6:7], v[6:7], s[16:17], -v[18:19]
	v_mul_f64 v[18:19], v[12:13], s[2:3]
	v_fma_f64 v[12:13], v[12:13], s[2:3], -v[38:39]
	v_fma_f64 v[18:19], v[28:29], s[14:15], -v[18:19]
	s_delay_alu instid0(VALU_DEP_2) | instskip(SKIP_1) | instid1(VALU_DEP_1)
	v_fma_f64 v[12:13], v[36:37], s[0:1], v[12:13]
	v_add_f64 v[28:29], v[63:64], -v[181:182]
	v_add_f64 v[38:39], v[28:29], -v[26:27]
	s_delay_alu instid0(VALU_DEP_1) | instskip(SKIP_2) | instid1(VALU_DEP_1)
	v_mul_f64 v[38:39], v[38:39], s[22:23]
	s_waitcnt vmcnt(0)
	v_add_f64 v[24:25], v[24:25], v[16:17]
	v_fma_f64 v[16:17], v[16:17], s[20:21], v[24:25]
	s_delay_alu instid0(VALU_DEP_1)
	v_add_f64 v[46:47], v[46:47], v[16:17]
	v_add_f64 v[14:15], v[14:15], v[16:17]
	;; [unrolled: 1-line block ×3, first 2 shown]
	v_fma_f64 v[16:17], v[36:37], s[0:1], v[18:19]
	v_add_f64 v[36:37], v[28:29], v[26:27]
	v_add_f64 v[28:29], v[30:31], -v[28:29]
	v_add_f64 v[50:51], v[48:49], v[46:47]
	s_delay_alu instid0(VALU_DEP_4)
	v_add_f64 v[18:19], v[16:17], v[6:7]
	v_add_f64 v[6:7], v[6:7], -v[16:17]
	v_add_f64 v[36:37], v[36:37], v[30:31]
	v_fma_f64 v[52:53], v[28:29], s[10:11], v[38:39]
	ds_store_2addr_b64 v111, v[24:25], v[50:51] offset0:5 offset1:54
	v_add_f64 v[24:25], v[14:15], -v[12:13]
	v_add_f64 v[12:13], v[12:13], v[14:15]
	v_add_f64 v[14:15], v[76:77], v[150:151]
	v_fma_f64 v[52:53], v[36:37], s[0:1], v[52:53]
	ds_store_2addr_b64 v111, v[18:19], v[24:25] offset0:103 offset1:152
	scratch_load_b64 v[24:25], off, off offset:196 ; 8-byte Folded Reload
	ds_store_2addr_b64 v111, v[12:13], v[6:7] offset0:201 offset1:250
	v_add_f64 v[6:7], v[176:177], v[74:75]
	v_add_f64 v[12:13], v[72:73], v[216:217]
	s_delay_alu instid0(VALU_DEP_2) | instskip(NEXT) | instid1(VALU_DEP_2)
	v_add_f64 v[18:19], v[6:7], -v[14:15]
	v_add_f64 v[16:17], v[12:13], v[6:7]
	v_add_f64 v[6:7], v[12:13], -v[6:7]
	s_delay_alu instid0(VALU_DEP_3) | instskip(NEXT) | instid1(VALU_DEP_3)
	v_mul_f64 v[18:19], v[18:19], s[18:19]
	v_add_f64 v[16:17], v[14:15], v[16:17]
	v_add_f64 v[14:15], v[14:15], -v[12:13]
	v_add_f64 v[12:13], v[26:27], -v[30:31]
	v_add_f64 v[26:27], v[194:195], -v[34:35]
	v_add_f64 v[30:31], v[142:143], -v[113:114]
	v_add_f64 v[114:115], v[115:116], -v[10:11]
	v_add_f64 v[10:11], v[40:41], -v[42:43]
	v_add_f64 v[112:113], v[218:219], v[8:9]
	v_add_f64 v[116:117], v[200:201], v[20:21]
	v_add_f64 v[8:9], v[238:239], -v[220:221]
	v_fma_f64 v[50:51], v[14:15], s[24:25], v[18:19]
	v_mul_f64 v[14:15], v[14:15], s[24:25]
	s_delay_alu instid0(VALU_DEP_3) | instskip(NEXT) | instid1(VALU_DEP_2)
	v_add_f64 v[220:221], v[8:9], -v[114:115]
	v_fma_f64 v[14:15], v[6:7], s[4:5], -v[14:15]
	v_fma_f64 v[6:7], v[6:7], s[16:17], -v[18:19]
	v_mul_f64 v[18:19], v[12:13], s[2:3]
	v_fma_f64 v[12:13], v[12:13], s[2:3], -v[38:39]
	s_delay_alu instid0(VALU_DEP_2) | instskip(NEXT) | instid1(VALU_DEP_2)
	v_fma_f64 v[18:19], v[28:29], s[14:15], -v[18:19]
	v_fma_f64 v[12:13], v[36:37], s[0:1], v[12:13]
	v_add_f64 v[28:29], v[188:189], -v[230:231]
	s_delay_alu instid0(VALU_DEP_1) | instskip(NEXT) | instid1(VALU_DEP_1)
	v_add_f64 v[38:39], v[28:29], -v[26:27]
	v_mul_f64 v[38:39], v[38:39], s[22:23]
	s_waitcnt vmcnt(0)
	v_add_f64 v[24:25], v[24:25], v[16:17]
	s_delay_alu instid0(VALU_DEP_1) | instskip(NEXT) | instid1(VALU_DEP_1)
	v_fma_f64 v[16:17], v[16:17], s[20:21], v[24:25]
	v_add_f64 v[50:51], v[50:51], v[16:17]
	v_add_f64 v[14:15], v[14:15], v[16:17]
	;; [unrolled: 1-line block ×3, first 2 shown]
	v_fma_f64 v[16:17], v[36:37], s[0:1], v[18:19]
	v_add_f64 v[36:37], v[28:29], v[26:27]
	v_add_f64 v[28:29], v[30:31], -v[28:29]
	v_add_f64 v[54:55], v[52:53], v[50:51]
	s_delay_alu instid0(VALU_DEP_4)
	v_add_f64 v[18:19], v[16:17], v[6:7]
	v_add_f64 v[6:7], v[6:7], -v[16:17]
	v_add_f64 v[36:37], v[36:37], v[30:31]
	v_fma_f64 v[56:57], v[28:29], s[10:11], v[38:39]
	ds_store_2addr_b64 v125, v[24:25], v[54:55] offset0:92 offset1:141
	v_add_f64 v[24:25], v[14:15], -v[12:13]
	v_add_f64 v[12:13], v[12:13], v[14:15]
	v_add_f64 v[14:15], v[70:71], v[164:165]
	v_fma_f64 v[56:57], v[36:37], s[0:1], v[56:57]
	ds_store_2addr_b64 v125, v[18:19], v[24:25] offset0:190 offset1:239
	scratch_load_b64 v[24:25], off, off offset:156 ; 8-byte Folded Reload
	ds_store_2addr_b64 v134, v[12:13], v[6:7] offset0:32 offset1:81
	v_add_f64 v[6:7], v[183:184], v[208:209]
	v_add_f64 v[12:13], v[254:255], v[68:69]
	s_delay_alu instid0(VALU_DEP_2) | instskip(NEXT) | instid1(VALU_DEP_2)
	v_add_f64 v[18:19], v[6:7], -v[14:15]
	v_add_f64 v[16:17], v[12:13], v[6:7]
	v_add_f64 v[6:7], v[12:13], -v[6:7]
	s_delay_alu instid0(VALU_DEP_3) | instskip(NEXT) | instid1(VALU_DEP_3)
	v_mul_f64 v[18:19], v[18:19], s[18:19]
	v_add_f64 v[16:17], v[14:15], v[16:17]
	v_add_f64 v[14:15], v[14:15], -v[12:13]
	v_add_f64 v[12:13], v[26:27], -v[30:31]
	v_add_f64 v[30:31], v[144:145], -v[101:102]
	v_add_f64 v[26:27], v[32:33], -v[152:153]
	s_delay_alu instid0(VALU_DEP_4) | instskip(SKIP_1) | instid1(VALU_DEP_1)
	v_fma_f64 v[54:55], v[14:15], s[24:25], v[18:19]
	v_mul_f64 v[14:15], v[14:15], s[24:25]
	v_fma_f64 v[14:15], v[6:7], s[4:5], -v[14:15]
	v_fma_f64 v[6:7], v[6:7], s[16:17], -v[18:19]
	v_mul_f64 v[18:19], v[12:13], s[2:3]
	v_fma_f64 v[12:13], v[12:13], s[2:3], -v[38:39]
	s_delay_alu instid0(VALU_DEP_2) | instskip(NEXT) | instid1(VALU_DEP_2)
	v_fma_f64 v[18:19], v[28:29], s[14:15], -v[18:19]
	v_fma_f64 v[12:13], v[36:37], s[0:1], v[12:13]
	v_add_f64 v[28:29], v[186:187], -v[250:251]
	s_delay_alu instid0(VALU_DEP_1) | instskip(NEXT) | instid1(VALU_DEP_1)
	v_add_f64 v[38:39], v[28:29], -v[26:27]
	v_mul_f64 v[38:39], v[38:39], s[22:23]
	s_waitcnt vmcnt(0)
	v_add_f64 v[24:25], v[24:25], v[16:17]
	s_delay_alu instid0(VALU_DEP_1) | instskip(NEXT) | instid1(VALU_DEP_1)
	v_fma_f64 v[16:17], v[16:17], s[20:21], v[24:25]
	v_add_f64 v[54:55], v[54:55], v[16:17]
	v_add_f64 v[14:15], v[14:15], v[16:17]
	;; [unrolled: 1-line block ×3, first 2 shown]
	v_fma_f64 v[16:17], v[36:37], s[0:1], v[18:19]
	v_add_f64 v[36:37], v[28:29], v[26:27]
	v_add_f64 v[28:29], v[30:31], -v[28:29]
	v_add_f64 v[58:59], v[56:57], v[54:55]
	s_delay_alu instid0(VALU_DEP_4)
	v_add_f64 v[18:19], v[16:17], v[6:7]
	v_add_f64 v[6:7], v[6:7], -v[16:17]
	v_add_f64 v[36:37], v[36:37], v[30:31]
	v_fma_f64 v[60:61], v[28:29], s[10:11], v[38:39]
	ds_store_2addr_b64 v173, v[24:25], v[58:59] offset0:179 offset1:228
	v_add_f64 v[24:25], v[14:15], -v[12:13]
	v_add_f64 v[12:13], v[12:13], v[14:15]
	v_add_f64 v[14:15], v[179:180], v[252:253]
	v_fma_f64 v[60:61], v[36:37], s[0:1], v[60:61]
	ds_store_2addr_b64 v135, v[18:19], v[24:25] offset0:21 offset1:70
	scratch_load_b64 v[24:25], off, off offset:148 ; 8-byte Folded Reload
	ds_store_2addr_b64 v135, v[12:13], v[6:7] offset0:119 offset1:168
	v_add_f64 v[6:7], v[222:223], v[99:100]
	v_add_f64 v[12:13], v[166:167], v[190:191]
	v_lshl_add_u32 v99, v45, 3, 0
	v_add_f64 v[100:101], v[22:23], -v[226:227]
	s_delay_alu instid0(VALU_DEP_2) | instskip(SKIP_3) | instid1(VALU_DEP_3)
	v_add_nc_u32_e32 v124, 0x4000, v99
	v_add_f64 v[18:19], v[6:7], -v[14:15]
	v_add_f64 v[16:17], v[12:13], v[6:7]
	v_add_f64 v[6:7], v[12:13], -v[6:7]
	v_mul_f64 v[18:19], v[18:19], s[18:19]
	s_delay_alu instid0(VALU_DEP_3) | instskip(SKIP_2) | instid1(VALU_DEP_2)
	v_add_f64 v[16:17], v[14:15], v[16:17]
	v_add_f64 v[14:15], v[14:15], -v[12:13]
	v_add_f64 v[12:13], v[26:27], -v[30:31]
	v_fma_f64 v[58:59], v[14:15], s[24:25], v[18:19]
	v_mul_f64 v[14:15], v[14:15], s[24:25]
	s_delay_alu instid0(VALU_DEP_1) | instskip(SKIP_3) | instid1(VALU_DEP_2)
	v_fma_f64 v[14:15], v[6:7], s[4:5], -v[14:15]
	v_fma_f64 v[6:7], v[6:7], s[16:17], -v[18:19]
	v_mul_f64 v[18:19], v[12:13], s[2:3]
	v_fma_f64 v[12:13], v[12:13], s[2:3], -v[38:39]
	v_fma_f64 v[18:19], v[28:29], s[14:15], -v[18:19]
	s_delay_alu instid0(VALU_DEP_2) | instskip(SKIP_2) | instid1(VALU_DEP_1)
	v_fma_f64 v[12:13], v[36:37], s[0:1], v[12:13]
	s_waitcnt vmcnt(0)
	v_add_f64 v[24:25], v[24:25], v[16:17]
	v_fma_f64 v[16:17], v[16:17], s[20:21], v[24:25]
	s_delay_alu instid0(VALU_DEP_1) | instskip(SKIP_3) | instid1(VALU_DEP_4)
	v_add_f64 v[58:59], v[58:59], v[16:17]
	v_add_f64 v[14:15], v[14:15], v[16:17]
	;; [unrolled: 1-line block ×3, first 2 shown]
	v_fma_f64 v[16:17], v[36:37], s[0:1], v[18:19]
	v_add_f64 v[44:45], v[60:61], v[58:59]
	s_delay_alu instid0(VALU_DEP_2)
	v_add_f64 v[18:19], v[16:17], v[6:7]
	v_add_f64 v[6:7], v[6:7], -v[16:17]
	v_add_f64 v[16:17], v[54:55], -v[56:57]
	ds_store_2addr_b64 v124, v[24:25], v[44:45] offset0:10 offset1:59
	v_add_f64 v[24:25], v[14:15], -v[12:13]
	v_add_f64 v[12:13], v[12:13], v[14:15]
	v_add_f64 v[14:15], v[50:51], -v[52:53]
	ds_store_2addr_b64 v124, v[18:19], v[24:25] offset0:108 offset1:157
	ds_store_2addr_b64 v124, v[12:13], v[6:7] offset0:206 offset1:255
	v_add_f64 v[12:13], v[46:47], -v[48:49]
	v_add_f64 v[18:19], v[58:59], -v[60:61]
	ds_store_b64 v91, v[10:11] offset:7840
	ds_store_b64 v96, v[12:13] offset:10584
	;; [unrolled: 1-line block ×5, first 2 shown]
	s_waitcnt lgkmcnt(0)
	s_barrier
	buffer_gl0_inv
	ds_load_b64 v[10:11], v170
	v_add_f64 v[6:7], v[136:137], v[214:215]
	v_add_nc_u32_e32 v14, 0x2000, v108
	v_add_nc_u32_e32 v24, 0x3000, v108
	ds_load_2addr_b64 v[36:39], v146 offset0:125 offset1:174
	v_dual_mov_b32 v61, v108 :: v_dual_mov_b32 v60, v14
	s_waitcnt lgkmcnt(1)
	scratch_store_b64 off, v[10:11], off offset:236 ; 8-byte Folded Spill
	ds_load_b64 v[10:11], v65
	v_mov_b32_e32 v65, v24
	v_add_f64 v[20:21], v[6:7], v[112:113]
	v_add_f64 v[136:137], v[116:117], -v[6:7]
	s_waitcnt lgkmcnt(0)
	scratch_store_b64 off, v[10:11], off offset:220 ; 8-byte Folded Spill
	ds_load_b64 v[10:11], v80
	v_add_f64 v[218:219], v[6:7], -v[112:113]
	v_add_f64 v[6:7], v[100:101], -v[8:9]
	s_waitcnt lgkmcnt(0)
	scratch_store_b64 off, v[10:11], off offset:228 ; 8-byte Folded Spill
	ds_load_b64 v[10:11], v108
	v_add_f64 v[20:21], v[116:117], v[20:21]
	v_mul_f64 v[6:7], v[6:7], s[22:23]
	s_waitcnt lgkmcnt(0)
	scratch_store_b64 off, v[10:11], off offset:40 ; 8-byte Folded Spill
	ds_load_b64 v[10:11], v62
	s_waitcnt lgkmcnt(0)
	scratch_store_b64 off, v[10:11], off offset:80 ; 8-byte Folded Spill
	ds_load_b64 v[10:11], v90
	v_add_f64 v[102:103], v[4:5], v[20:21]
	v_add_f64 v[4:5], v[100:101], v[8:9]
	v_fma_f64 v[22:23], v[220:221], s[2:3], -v[6:7]
	s_waitcnt lgkmcnt(0)
	scratch_store_b64 off, v[10:11], off offset:148 ; 8-byte Folded Spill
	ds_load_b64 v[10:11], v163
	s_waitcnt lgkmcnt(0)
	scratch_store_b64 off, v[10:11], off offset:212 ; 8-byte Folded Spill
	ds_load_2addr_b64 v[10:13], v160 offset0:87 offset1:136
	v_fma_f64 v[8:9], v[20:21], s[20:21], v[102:103]
	v_mul_f64 v[20:21], v[136:137], s[24:25]
	v_add_f64 v[4:5], v[4:5], v[114:115]
	s_waitcnt lgkmcnt(0)
	scratch_store_b128 off, v[10:13], off offset:316 ; 16-byte Folded Spill
	ds_load_2addr_b64 v[10:13], v14 offset0:5 offset1:54
	s_waitcnt lgkmcnt(0)
	scratch_store_b128 off, v[10:13], off offset:196 ; 16-byte Folded Spill
	ds_load_2addr_b64 v[10:13], v147 offset0:43 offset1:92
	v_fma_f64 v[20:21], v[218:219], s[4:5], -v[20:21]
	v_fma_f64 v[22:23], v[4:5], s[0:1], v[22:23]
	s_waitcnt lgkmcnt(0)
	scratch_store_b128 off, v[10:13], off offset:156 ; 16-byte Folded Spill
	ds_load_2addr_b64 v[10:13], v24 offset0:179 offset1:228
	s_waitcnt lgkmcnt(0)
	scratch_store_b128 off, v[10:13], off offset:332 ; 16-byte Folded Spill
	ds_load_2addr_b64 v[28:31], v185 offset0:89 offset1:138
	ds_load_2addr_b64 v[10:13], v178 offset0:95 offset1:144
	v_add_f64 v[20:21], v[20:21], v[8:9]
	s_waitcnt lgkmcnt(0)
	scratch_store_b128 off, v[10:13], off offset:348 ; 16-byte Folded Spill
	ds_load_2addr_b64 v[10:13], v147 offset0:141 offset1:190
	v_add_f64 v[214:215], v[22:23], v[20:21]
	v_add_f64 v[226:227], v[20:21], -v[22:23]
	s_waitcnt lgkmcnt(0)
	scratch_store_b128 off, v[10:13], off offset:364 ; 16-byte Folded Spill
	ds_load_2addr_b64 v[10:13], v122 offset0:59 offset1:108
	s_waitcnt lgkmcnt(0)
	scratch_store_b128 off, v[10:13], off offset:380 ; 16-byte Folded Spill
	ds_load_2addr_b64 v[10:13], v160 offset0:185 offset1:234
	;; [unrolled: 3-line block ×3, first 2 shown]
	s_waitcnt lgkmcnt(0)
	scratch_store_b128 off, v[10:13], off offset:408 ; 16-byte Folded Spill
	v_add_nc_u32_e32 v11, 0x3800, v108
	v_add_nc_u32_e32 v10, 0x1800, v108
	ds_load_2addr_b64 v[15:18], v11 offset0:21 offset1:70
	s_waitcnt lgkmcnt(0)
	scratch_store_b128 off, v[15:18], off offset:424 ; 16-byte Folded Spill
	ds_load_2addr_b64 v[44:47], v10 offset0:65 offset1:114
	ds_load_2addr_b64 v[40:43], v83 offset0:111 offset1:160
	;; [unrolled: 1-line block ×9, first 2 shown]
	s_waitcnt lgkmcnt(0)
	s_waitcnt_vscnt null, 0x0
	s_barrier
	buffer_gl0_inv
	v_add_f64 v[10:11], v[118:119], v[130:131]
	scratch_load_b64 v[118:119], off, off offset:96 ; 8-byte Folded Reload
	ds_store_2addr_b64 v123, v[214:215], v[226:227] offset0:106 offset1:155
	s_waitcnt vmcnt(0)
	v_add_f64 v[86:87], v[118:119], -v[86:87]
	scratch_load_b64 v[118:119], off, off offset:112 ; 8-byte Folded Reload
	s_waitcnt vmcnt(0)
	v_add_f64 v[128:129], v[126:127], -v[118:119]
	scratch_load_b64 v[118:119], off, off offset:260 ; 8-byte Folded Reload
	s_waitcnt vmcnt(0)
	v_add_f64 v[84:85], v[118:119], v[84:85]
	scratch_load_b64 v[118:119], off, off offset:120 ; 8-byte Folded Reload
	v_add_f64 v[126:127], v[2:3], -v[84:85]
	s_delay_alu instid0(VALU_DEP_1) | instskip(SKIP_3) | instid1(VALU_DEP_2)
	v_mul_f64 v[126:127], v[126:127], s[18:19]
	s_waitcnt vmcnt(0)
	v_add_f64 v[104:105], v[104:105], -v[118:119]
	v_add_f64 v[118:119], v[10:11], v[2:3]
	v_add_f64 v[200:201], v[104:105], -v[128:129]
	s_delay_alu instid0(VALU_DEP_2)
	v_add_f64 v[118:119], v[84:85], v[118:119]
	v_add_f64 v[84:85], v[84:85], -v[10:11]
	v_add_f64 v[130:131], v[104:105], v[128:129]
	v_add_f64 v[104:105], v[86:87], -v[104:105]
	v_mul_f64 v[200:201], v[200:201], s[22:23]
	v_add_f64 v[0:1], v[0:1], v[118:119]
	v_fma_f64 v[214:215], v[84:85], s[24:25], v[126:127]
	v_add_f64 v[130:131], v[130:131], v[86:87]
	s_delay_alu instid0(VALU_DEP_4) | instskip(NEXT) | instid1(VALU_DEP_4)
	v_fma_f64 v[226:227], v[104:105], s[10:11], v[200:201]
	v_fma_f64 v[118:119], v[118:119], s[20:21], v[0:1]
	s_delay_alu instid0(VALU_DEP_2) | instskip(NEXT) | instid1(VALU_DEP_2)
	v_fma_f64 v[226:227], v[130:131], s[0:1], v[226:227]
	v_add_f64 v[214:215], v[214:215], v[118:119]
	s_delay_alu instid0(VALU_DEP_1) | instskip(SKIP_4) | instid1(VALU_DEP_2)
	v_add_f64 v[238:239], v[214:215], -v[226:227]
	ds_store_2addr_b64 v108, v[0:1], v[238:239] offset1:49
	v_add_f64 v[0:1], v[10:11], -v[2:3]
	v_add_f64 v[2:3], v[128:129], -v[86:87]
	v_mul_f64 v[10:11], v[84:85], s[24:25]
	v_mul_f64 v[84:85], v[2:3], s[2:3]
	s_delay_alu instid0(VALU_DEP_2) | instskip(SKIP_2) | instid1(VALU_DEP_4)
	v_fma_f64 v[10:11], v[0:1], s[4:5], -v[10:11]
	v_fma_f64 v[0:1], v[0:1], s[16:17], -v[126:127]
	;; [unrolled: 1-line block ×4, first 2 shown]
	s_delay_alu instid0(VALU_DEP_4) | instskip(NEXT) | instid1(VALU_DEP_4)
	v_add_f64 v[10:11], v[10:11], v[118:119]
	v_add_f64 v[0:1], v[0:1], v[118:119]
	s_delay_alu instid0(VALU_DEP_4) | instskip(NEXT) | instid1(VALU_DEP_4)
	v_fma_f64 v[2:3], v[130:131], s[0:1], v[2:3]
	v_fma_f64 v[84:85], v[130:131], s[0:1], v[84:85]
	s_delay_alu instid0(VALU_DEP_2) | instskip(SKIP_1) | instid1(VALU_DEP_3)
	v_add_f64 v[104:105], v[2:3], v[10:11]
	v_add_f64 v[2:3], v[10:11], -v[2:3]
	v_add_f64 v[86:87], v[0:1], -v[84:85]
	v_add_f64 v[0:1], v[84:85], v[0:1]
	v_mul_f64 v[84:85], v[220:221], s[2:3]
	ds_store_2addr_b64 v108, v[86:87], v[104:105] offset0:98 offset1:147
	ds_store_2addr_b64 v108, v[2:3], v[0:1] offset0:196 offset1:245
	v_add_f64 v[0:1], v[226:227], v[214:215]
	v_add_f64 v[2:3], v[114:115], -v[100:101]
	v_mov_b32_e32 v214, v146
	ds_store_2addr_b64 v160, v[0:1], v[102:103] offset0:38 offset1:87
	v_add_f64 v[0:1], v[112:113], -v[116:117]
	v_fma_f64 v[6:7], v[2:3], s[10:11], v[6:7]
	v_fma_f64 v[2:3], v[2:3], s[14:15], -v[84:85]
	s_delay_alu instid0(VALU_DEP_3) | instskip(NEXT) | instid1(VALU_DEP_3)
	v_mul_f64 v[0:1], v[0:1], s[18:19]
	v_fma_f64 v[6:7], v[4:5], s[0:1], v[6:7]
	s_delay_alu instid0(VALU_DEP_3) | instskip(NEXT) | instid1(VALU_DEP_3)
	v_fma_f64 v[2:3], v[4:5], s[0:1], v[2:3]
	v_fma_f64 v[10:11], v[136:137], s[24:25], v[0:1]
	v_fma_f64 v[0:1], v[218:219], s[16:17], -v[0:1]
	v_mov_b32_e32 v218, v160
	s_delay_alu instid0(VALU_DEP_3) | instskip(NEXT) | instid1(VALU_DEP_3)
	v_add_f64 v[10:11], v[10:11], v[8:9]
	v_add_f64 v[0:1], v[0:1], v[8:9]
	s_delay_alu instid0(VALU_DEP_2) | instskip(NEXT) | instid1(VALU_DEP_2)
	v_add_f64 v[4:5], v[10:11], -v[6:7]
	v_add_f64 v[8:9], v[0:1], -v[2:3]
	v_add_f64 v[0:1], v[2:3], v[0:1]
	v_add_f64 v[2:3], v[6:7], v[10:11]
	v_add_f64 v[6:7], v[224:225], -v[88:89]
	v_add_f64 v[10:11], v[236:237], -v[92:93]
	ds_store_2addr_b64 v160, v[4:5], v[8:9] offset0:136 offset1:185
	v_add_f64 v[4:5], v[161:162], -v[212:213]
	ds_store_2addr_b64 v146, v[0:1], v[2:3] offset0:76 offset1:125
	v_add_f64 v[0:1], v[174:175], v[202:203]
	v_add_f64 v[2:3], v[210:211], v[228:229]
	;; [unrolled: 1-line block ×3, first 2 shown]
	v_add_f64 v[100:101], v[10:11], -v[6:7]
	v_add_f64 v[92:93], v[10:11], v[6:7]
	v_add_f64 v[10:11], v[4:5], -v[10:11]
	v_add_f64 v[84:85], v[2:3], v[0:1]
	v_add_f64 v[86:87], v[0:1], -v[8:9]
	v_mul_f64 v[100:101], v[100:101], s[22:23]
	v_add_f64 v[0:1], v[2:3], -v[0:1]
	v_add_f64 v[92:93], v[92:93], v[4:5]
	v_add_f64 v[84:85], v[8:9], v[84:85]
	v_add_f64 v[8:9], v[8:9], -v[2:3]
	v_add_f64 v[2:3], v[6:7], -v[4:5]
	v_mul_f64 v[86:87], v[86:87], s[18:19]
	v_fma_f64 v[104:105], v[10:11], s[10:11], v[100:101]
	v_add_f64 v[88:89], v[204:205], v[84:85]
	v_mul_f64 v[4:5], v[8:9], s[24:25]
	v_fma_f64 v[6:7], v[2:3], s[2:3], -v[100:101]
	v_mul_f64 v[2:3], v[2:3], s[2:3]
	v_fma_f64 v[102:103], v[8:9], s[24:25], v[86:87]
	v_fma_f64 v[104:105], v[92:93], s[0:1], v[104:105]
	;; [unrolled: 1-line block ×3, first 2 shown]
	v_fma_f64 v[4:5], v[0:1], s[4:5], -v[4:5]
	v_fma_f64 v[0:1], v[0:1], s[16:17], -v[86:87]
	;; [unrolled: 1-line block ×3, first 2 shown]
	v_fma_f64 v[6:7], v[92:93], s[0:1], v[6:7]
	v_add_f64 v[102:103], v[102:103], v[84:85]
	v_add_f64 v[4:5], v[4:5], v[84:85]
	;; [unrolled: 1-line block ×3, first 2 shown]
	v_fma_f64 v[2:3], v[92:93], s[0:1], v[2:3]
	s_delay_alu instid0(VALU_DEP_4) | instskip(NEXT) | instid1(VALU_DEP_4)
	v_add_f64 v[112:113], v[102:103], -v[104:105]
	v_add_f64 v[8:9], v[6:7], v[4:5]
	v_add_f64 v[4:5], v[4:5], -v[6:7]
	s_delay_alu instid0(VALU_DEP_4)
	v_add_f64 v[10:11], v[0:1], -v[2:3]
	v_add_f64 v[0:1], v[2:3], v[0:1]
	v_add_f64 v[2:3], v[234:235], v[242:243]
	v_add_f64 v[6:7], v[156:157], -v[171:172]
	ds_store_2addr_b64 v132, v[88:89], v[112:113] offset0:174 offset1:223
	ds_store_2addr_b64 v133, v[10:11], v[8:9] offset0:16 offset1:65
	;; [unrolled: 1-line block ×3, first 2 shown]
	v_add_f64 v[0:1], v[248:249], v[138:139]
	v_add_f64 v[10:11], v[94:95], -v[154:155]
	v_add_f64 v[4:5], v[78:79], -v[81:82]
	v_add_f64 v[8:9], v[148:149], v[240:241]
	s_delay_alu instid0(VALU_DEP_4) | instskip(NEXT) | instid1(VALU_DEP_4)
	v_add_f64 v[84:85], v[2:3], v[0:1]
	v_add_f64 v[100:101], v[10:11], -v[6:7]
	v_add_f64 v[92:93], v[10:11], v[6:7]
	s_delay_alu instid0(VALU_DEP_4)
	v_add_f64 v[86:87], v[0:1], -v[8:9]
	v_add_f64 v[0:1], v[2:3], -v[0:1]
	;; [unrolled: 1-line block ×3, first 2 shown]
	v_add_f64 v[84:85], v[8:9], v[84:85]
	v_add_f64 v[8:9], v[8:9], -v[2:3]
	v_mul_f64 v[100:101], v[100:101], s[22:23]
	v_add_f64 v[2:3], v[6:7], -v[4:5]
	v_mul_f64 v[86:87], v[86:87], s[18:19]
	v_add_f64 v[92:93], v[92:93], v[4:5]
	v_add_f64 v[88:89], v[246:247], v[84:85]
	v_mul_f64 v[4:5], v[8:9], s[24:25]
	v_fma_f64 v[114:115], v[10:11], s[10:11], v[100:101]
	v_fma_f64 v[6:7], v[2:3], s[2:3], -v[100:101]
	v_mul_f64 v[2:3], v[2:3], s[2:3]
	v_fma_f64 v[112:113], v[8:9], s[24:25], v[86:87]
	v_fma_f64 v[84:85], v[84:85], s[20:21], v[88:89]
	v_fma_f64 v[4:5], v[0:1], s[4:5], -v[4:5]
	v_fma_f64 v[0:1], v[0:1], s[16:17], -v[86:87]
	v_fma_f64 v[6:7], v[92:93], s[0:1], v[6:7]
	v_fma_f64 v[2:3], v[10:11], s[14:15], -v[2:3]
	v_fma_f64 v[114:115], v[92:93], s[0:1], v[114:115]
	v_add_f64 v[112:113], v[112:113], v[84:85]
	v_add_f64 v[4:5], v[4:5], v[84:85]
	;; [unrolled: 1-line block ×3, first 2 shown]
	v_fma_f64 v[2:3], v[92:93], s[0:1], v[2:3]
	s_delay_alu instid0(VALU_DEP_4) | instskip(NEXT) | instid1(VALU_DEP_4)
	v_add_f64 v[116:117], v[112:113], -v[114:115]
	v_add_f64 v[8:9], v[6:7], v[4:5]
	v_add_f64 v[4:5], v[4:5], -v[6:7]
	v_add_f64 v[6:7], v[72:73], -v[216:217]
	;; [unrolled: 1-line block ×3, first 2 shown]
	v_add_f64 v[0:1], v[2:3], v[0:1]
	v_add_f64 v[2:3], v[109:110], v[140:141]
	ds_store_2addr_b64 v111, v[88:89], v[116:117] offset0:5 offset1:54
	ds_store_2addr_b64 v111, v[10:11], v[8:9] offset0:103 offset1:152
	;; [unrolled: 1-line block ×3, first 2 shown]
	v_add_f64 v[0:1], v[168:169], v[158:159]
	v_add_f64 v[10:11], v[150:151], -v[76:77]
	v_add_f64 v[4:5], v[176:177], -v[74:75]
	v_add_f64 v[8:9], v[181:182], v[63:64]
	s_delay_alu instid0(VALU_DEP_4) | instskip(NEXT) | instid1(VALU_DEP_4)
	v_add_f64 v[84:85], v[2:3], v[0:1]
	v_add_f64 v[100:101], v[10:11], -v[6:7]
	v_add_f64 v[92:93], v[10:11], v[6:7]
	s_delay_alu instid0(VALU_DEP_4)
	v_add_f64 v[86:87], v[0:1], -v[8:9]
	v_add_f64 v[0:1], v[2:3], -v[0:1]
	;; [unrolled: 1-line block ×3, first 2 shown]
	v_add_f64 v[84:85], v[8:9], v[84:85]
	v_add_f64 v[8:9], v[8:9], -v[2:3]
	v_mul_f64 v[100:101], v[100:101], s[22:23]
	v_add_f64 v[2:3], v[6:7], -v[4:5]
	v_mul_f64 v[86:87], v[86:87], s[18:19]
	v_add_f64 v[92:93], v[92:93], v[4:5]
	v_add_f64 v[88:89], v[244:245], v[84:85]
	v_mul_f64 v[4:5], v[8:9], s[24:25]
	v_fma_f64 v[116:117], v[10:11], s[10:11], v[100:101]
	v_fma_f64 v[6:7], v[2:3], s[2:3], -v[100:101]
	v_mul_f64 v[2:3], v[2:3], s[2:3]
	v_fma_f64 v[109:110], v[8:9], s[24:25], v[86:87]
	v_fma_f64 v[84:85], v[84:85], s[20:21], v[88:89]
	v_fma_f64 v[4:5], v[0:1], s[4:5], -v[4:5]
	v_fma_f64 v[0:1], v[0:1], s[16:17], -v[86:87]
	v_fma_f64 v[6:7], v[92:93], s[0:1], v[6:7]
	v_fma_f64 v[2:3], v[10:11], s[14:15], -v[2:3]
	v_fma_f64 v[116:117], v[92:93], s[0:1], v[116:117]
	v_add_f64 v[109:110], v[109:110], v[84:85]
	v_add_f64 v[4:5], v[4:5], v[84:85]
	;; [unrolled: 1-line block ×3, first 2 shown]
	v_fma_f64 v[2:3], v[92:93], s[0:1], v[2:3]
	s_delay_alu instid0(VALU_DEP_4) | instskip(NEXT) | instid1(VALU_DEP_4)
	v_add_f64 v[118:119], v[109:110], -v[116:117]
	v_add_f64 v[8:9], v[6:7], v[4:5]
	v_add_f64 v[4:5], v[4:5], -v[6:7]
	v_add_f64 v[6:7], v[254:255], -v[68:69]
	;; [unrolled: 1-line block ×3, first 2 shown]
	v_add_f64 v[0:1], v[2:3], v[0:1]
	v_add_f64 v[2:3], v[194:195], v[34:35]
	scratch_load_b64 v[34:35], off, off offset:64 ; 8-byte Folded Reload
	ds_store_2addr_b64 v125, v[88:89], v[118:119] offset0:92 offset1:141
	ds_store_2addr_b64 v125, v[10:11], v[8:9] offset0:190 offset1:239
	;; [unrolled: 1-line block ×3, first 2 shown]
	v_add_f64 v[0:1], v[142:143], v[106:107]
	v_add_f64 v[10:11], v[164:165], -v[70:71]
	v_add_f64 v[4:5], v[183:184], -v[208:209]
	v_add_f64 v[8:9], v[230:231], v[188:189]
	s_delay_alu instid0(VALU_DEP_4) | instskip(NEXT) | instid1(VALU_DEP_4)
	v_add_f64 v[84:85], v[2:3], v[0:1]
	v_add_f64 v[94:95], v[10:11], -v[6:7]
	v_add_f64 v[92:93], v[10:11], v[6:7]
	s_delay_alu instid0(VALU_DEP_4)
	v_add_f64 v[86:87], v[0:1], -v[8:9]
	v_add_f64 v[0:1], v[2:3], -v[0:1]
	;; [unrolled: 1-line block ×3, first 2 shown]
	v_add_f64 v[84:85], v[8:9], v[84:85]
	v_add_f64 v[8:9], v[8:9], -v[2:3]
	v_mul_f64 v[94:95], v[94:95], s[22:23]
	v_add_f64 v[2:3], v[6:7], -v[4:5]
	v_mul_f64 v[86:87], v[86:87], s[18:19]
	v_add_f64 v[92:93], v[92:93], v[4:5]
	v_mul_f64 v[4:5], v[8:9], s[24:25]
	v_fma_f64 v[106:107], v[10:11], s[10:11], v[94:95]
	v_fma_f64 v[6:7], v[2:3], s[2:3], -v[94:95]
	v_mul_f64 v[2:3], v[2:3], s[2:3]
	v_fma_f64 v[100:101], v[8:9], s[24:25], v[86:87]
	v_fma_f64 v[4:5], v[0:1], s[4:5], -v[4:5]
	v_fma_f64 v[0:1], v[0:1], s[16:17], -v[86:87]
	v_fma_f64 v[6:7], v[92:93], s[0:1], v[6:7]
	v_fma_f64 v[2:3], v[10:11], s[14:15], -v[2:3]
	v_fma_f64 v[106:107], v[92:93], s[0:1], v[106:107]
	s_delay_alu instid0(VALU_DEP_2) | instskip(SKIP_2) | instid1(VALU_DEP_1)
	v_fma_f64 v[2:3], v[92:93], s[0:1], v[2:3]
	s_waitcnt vmcnt(0)
	v_add_f64 v[88:89], v[34:35], v[84:85]
	v_fma_f64 v[84:85], v[84:85], s[20:21], v[88:89]
	s_delay_alu instid0(VALU_DEP_1) | instskip(SKIP_2) | instid1(VALU_DEP_3)
	v_add_f64 v[0:1], v[0:1], v[84:85]
	v_add_f64 v[4:5], v[4:5], v[84:85]
	;; [unrolled: 1-line block ×3, first 2 shown]
	v_add_f64 v[10:11], v[0:1], -v[2:3]
	v_add_f64 v[0:1], v[2:3], v[0:1]
	v_add_f64 v[2:3], v[32:33], v[152:153]
	scratch_load_b64 v[32:33], off, off offset:48 ; 8-byte Folded Reload
	v_add_f64 v[8:9], v[6:7], v[4:5]
	v_add_f64 v[4:5], v[4:5], -v[6:7]
	v_add_f64 v[6:7], v[166:167], -v[190:191]
	;; [unrolled: 1-line block ×3, first 2 shown]
	ds_store_2addr_b64 v135, v[10:11], v[8:9] offset0:21 offset1:70
	ds_store_2addr_b64 v135, v[4:5], v[0:1] offset0:119 offset1:168
	v_add_f64 v[0:1], v[144:145], v[120:121]
	v_add_f64 v[10:11], v[252:253], -v[179:180]
	v_add_f64 v[4:5], v[222:223], -v[192:193]
	v_add_f64 v[8:9], v[250:251], v[186:187]
	ds_store_2addr_b64 v173, v[88:89], v[118:119] offset0:179 offset1:228
	v_add_f64 v[84:85], v[2:3], v[0:1]
	v_add_f64 v[94:95], v[10:11], -v[6:7]
	v_add_f64 v[92:93], v[10:11], v[6:7]
	v_add_f64 v[86:87], v[0:1], -v[8:9]
	v_add_f64 v[0:1], v[2:3], -v[0:1]
	;; [unrolled: 1-line block ×3, first 2 shown]
	v_add_f64 v[84:85], v[8:9], v[84:85]
	v_add_f64 v[8:9], v[8:9], -v[2:3]
	v_mul_f64 v[94:95], v[94:95], s[22:23]
	v_add_f64 v[2:3], v[6:7], -v[4:5]
	v_mul_f64 v[86:87], v[86:87], s[18:19]
	v_add_f64 v[92:93], v[92:93], v[4:5]
	v_mul_f64 v[4:5], v[8:9], s[24:25]
	v_fma_f64 v[120:121], v[10:11], s[10:11], v[94:95]
	v_fma_f64 v[6:7], v[2:3], s[2:3], -v[94:95]
	v_mul_f64 v[2:3], v[2:3], s[2:3]
	v_fma_f64 v[118:119], v[8:9], s[24:25], v[86:87]
	v_fma_f64 v[4:5], v[0:1], s[4:5], -v[4:5]
	v_fma_f64 v[0:1], v[0:1], s[16:17], -v[86:87]
	v_fma_f64 v[6:7], v[92:93], s[0:1], v[6:7]
	v_fma_f64 v[2:3], v[10:11], s[14:15], -v[2:3]
	v_fma_f64 v[120:121], v[92:93], s[0:1], v[120:121]
	s_delay_alu instid0(VALU_DEP_2) | instskip(SKIP_2) | instid1(VALU_DEP_1)
	v_fma_f64 v[2:3], v[92:93], s[0:1], v[2:3]
	s_waitcnt vmcnt(0)
	v_add_f64 v[88:89], v[32:33], v[84:85]
	v_fma_f64 v[84:85], v[84:85], s[20:21], v[88:89]
	s_delay_alu instid0(VALU_DEP_1) | instskip(SKIP_2) | instid1(VALU_DEP_3)
	v_add_f64 v[4:5], v[4:5], v[84:85]
	v_add_f64 v[0:1], v[0:1], v[84:85]
	;; [unrolled: 1-line block ×4, first 2 shown]
	s_delay_alu instid0(VALU_DEP_3)
	v_add_f64 v[10:11], v[0:1], -v[2:3]
	v_add_f64 v[4:5], v[4:5], -v[6:7]
	v_add_f64 v[0:1], v[2:3], v[0:1]
	v_add_f64 v[2:3], v[114:115], v[112:113]
	v_add_f64 v[122:123], v[118:119], -v[120:121]
	ds_store_2addr_b64 v124, v[10:11], v[8:9] offset0:108 offset1:157
	ds_store_2addr_b64 v124, v[4:5], v[0:1] offset0:206 offset1:255
	v_add_f64 v[0:1], v[104:105], v[102:103]
	ds_store_b64 v96, v[2:3] offset:10584
	v_add_f64 v[2:3], v[106:107], v[100:101]
	ds_store_2addr_b64 v124, v[88:89], v[122:123] offset0:10 offset1:59
	ds_store_b64 v91, v[0:1] offset:7840
	v_add_f64 v[0:1], v[116:117], v[109:110]
	ds_store_b64 v97, v[0:1] offset:13328
	ds_store_b64 v98, v[2:3] offset:16072
	v_add_f64 v[0:1], v[120:121], v[118:119]
	ds_store_b64 v99, v[0:1] offset:18816
	s_waitcnt lgkmcnt(0)
	s_barrier
	buffer_gl0_inv
	s_and_saveexec_b32 s28, vcc_lo
	s_cbranch_execz .LBB0_15
; %bb.14:
	s_clause 0x1
	scratch_load_b32 v220, off, off offset:404
	scratch_load_b32 v0, off, off offset:456
	v_dual_mov_b32 v93, 0 :: v_dual_mov_b32 v222, v61
	v_dual_mov_b32 v221, v65 :: v_dual_mov_b32 v108, v60
	s_delay_alu instid0(VALU_DEP_2)
	v_add_nc_u32_e32 v90, 0x3c00, v222
	v_add_nc_u32_e32 v216, 0x1800, v222
	s_waitcnt vmcnt(1)
	v_mul_i32_i24_e32 v92, 6, v220
	s_waitcnt vmcnt(0)
	v_add_co_u32 v0, s28, s8, v0
	s_delay_alu instid0(VALU_DEP_1) | instskip(NEXT) | instid1(VALU_DEP_3)
	v_add_co_ci_u32_e64 v1, null, s9, 0, s28
	v_lshlrev_b64 v[2:3], 4, v[92:93]
	s_delay_alu instid0(VALU_DEP_3) | instskip(NEXT) | instid1(VALU_DEP_3)
	v_add_co_u32 v84, vcc_lo, 0x1500, v0
	v_add_co_ci_u32_e32 v85, vcc_lo, 0, v1, vcc_lo
	s_delay_alu instid0(VALU_DEP_3) | instskip(NEXT) | instid1(VALU_DEP_4)
	v_add_co_u32 v6, vcc_lo, s8, v2
	v_add_co_ci_u32_e32 v7, vcc_lo, s9, v3, vcc_lo
	global_load_b128 v[86:89], v[84:85], off offset:16
	v_add_co_u32 v2, vcc_lo, 0x1000, v6
	v_add_co_ci_u32_e32 v3, vcc_lo, 0, v7, vcc_lo
	v_add_co_u32 v4, vcc_lo, 0x1540, v0
	v_add_co_ci_u32_e32 v5, vcc_lo, 0, v1, vcc_lo
	s_clause 0x1
	global_load_b128 v[109:112], v[2:3], off offset:1280
	global_load_b128 v[113:116], v[4:5], off offset:16
	scratch_load_b32 v4, off, off offset:144 ; 4-byte Folded Reload
	global_load_b128 v[117:120], v[2:3], off offset:1344
	v_add_co_u32 v2, vcc_lo, 0x1540, v6
	v_add_co_ci_u32_e32 v3, vcc_lo, 0, v7, vcc_lo
	global_load_b128 v[121:124], v[2:3], off offset:16
	s_waitcnt vmcnt(2)
	v_mul_i32_i24_e32 v92, 6, v4
	s_delay_alu instid0(VALU_DEP_1) | instskip(NEXT) | instid1(VALU_DEP_1)
	v_lshlrev_b64 v[4:5], 4, v[92:93]
	v_add_co_u32 v8, vcc_lo, s8, v4
	s_delay_alu instid0(VALU_DEP_2) | instskip(NEXT) | instid1(VALU_DEP_2)
	v_add_co_ci_u32_e32 v9, vcc_lo, s9, v5, vcc_lo
	v_add_co_u32 v2, vcc_lo, 0x1540, v8
	s_delay_alu instid0(VALU_DEP_2)
	v_add_co_ci_u32_e32 v3, vcc_lo, 0, v9, vcc_lo
	global_load_b128 v[125:128], v[2:3], off offset:16
	v_add_co_u32 v2, vcc_lo, 0x1500, v6
	v_add_co_ci_u32_e32 v3, vcc_lo, 0, v7, vcc_lo
	v_add_co_u32 v4, vcc_lo, 0x1500, v8
	v_add_co_ci_u32_e32 v5, vcc_lo, 0, v9, vcc_lo
	s_clause 0x2
	global_load_b128 v[129:132], v[2:3], off offset:16
	global_load_b128 v[133:136], v[4:5], off offset:16
	;; [unrolled: 1-line block ×3, first 2 shown]
	scratch_load_b32 v6, off, off offset:300 ; 4-byte Folded Reload
	global_load_b128 v[145:148], v[4:5], off offset:48
	s_waitcnt vmcnt(1)
	v_mul_i32_i24_e32 v92, 6, v6
	s_delay_alu instid0(VALU_DEP_1) | instskip(NEXT) | instid1(VALU_DEP_1)
	v_lshlrev_b64 v[6:7], 4, v[92:93]
	v_add_co_u32 v10, vcc_lo, s8, v6
	s_delay_alu instid0(VALU_DEP_2) | instskip(SKIP_2) | instid1(VALU_DEP_4)
	v_add_co_ci_u32_e32 v11, vcc_lo, s9, v7, vcc_lo
	v_add_co_u32 v6, vcc_lo, 0x1000, v8
	v_add_co_ci_u32_e32 v7, vcc_lo, 0, v9, vcc_lo
	v_add_co_u32 v8, vcc_lo, 0x1000, v10
	s_delay_alu instid0(VALU_DEP_4)
	v_add_co_ci_u32_e32 v9, vcc_lo, 0, v11, vcc_lo
	s_clause 0x3
	global_load_b128 v[149:152], v[6:7], off offset:1280
	global_load_b128 v[153:156], v[8:9], off offset:1280
	;; [unrolled: 1-line block ×4, first 2 shown]
	v_add_co_u32 v6, vcc_lo, 0x1500, v10
	v_add_co_ci_u32_e32 v7, vcc_lo, 0, v11, vcc_lo
	s_clause 0x1
	global_load_b128 v[165:168], v[4:5], off offset:32
	global_load_b128 v[169:172], v[6:7], off offset:32
	scratch_load_b32 v4, off, off offset:24 ; 4-byte Folded Reload
	v_add_co_u32 v8, vcc_lo, 0x1540, v10
	v_add_co_ci_u32_e32 v9, vcc_lo, 0, v11, vcc_lo
	global_load_b128 v[173:176], v[8:9], off offset:16
	s_waitcnt vmcnt(1)
	v_mul_i32_i24_e32 v92, 6, v4
	s_delay_alu instid0(VALU_DEP_1) | instskip(SKIP_1) | instid1(VALU_DEP_2)
	v_lshlrev_b64 v[4:5], 4, v[92:93]
	v_add_nc_u32_e32 v92, 0x4400, v222
	v_add_co_u32 v195, vcc_lo, s8, v4
	s_delay_alu instid0(VALU_DEP_3) | instskip(NEXT) | instid1(VALU_DEP_2)
	v_add_co_ci_u32_e32 v200, vcc_lo, s9, v5, vcc_lo
	v_add_co_u32 v4, vcc_lo, 0x1540, v195
	s_delay_alu instid0(VALU_DEP_2)
	v_add_co_ci_u32_e32 v5, vcc_lo, 0, v200, vcc_lo
	s_clause 0x1
	global_load_b128 v[177:180], v[4:5], off offset:16
	global_load_b128 v[181:184], v[6:7], off offset:16
	ds_load_2addr_b64 v[104:107], v214 offset0:125 offset1:174
	v_add_co_u32 v4, vcc_lo, 0x1500, v195
	v_add_co_ci_u32_e32 v5, vcc_lo, 0, v200, vcc_lo
	v_add_co_u32 v94, vcc_lo, 0x1000, v0
	v_add_co_ci_u32_e32 v95, vcc_lo, 0, v1, vcc_lo
	ds_load_2addr_b64 v[189:192], v90 offset0:89 offset1:138
	ds_load_2addr_b64 v[206:209], v92 offset0:127 offset1:176
	global_load_b128 v[185:188], v[4:5], off offset:16
	ds_load_2addr_b64 v[80:83], v216 offset0:163 offset1:212
	s_clause 0x3
	global_load_b128 v[68:71], v[4:5], off offset:32
	global_load_b128 v[202:205], v[6:7], off offset:48
	;; [unrolled: 1-line block ×4, first 2 shown]
	s_waitcnt lgkmcnt(3)
	v_mul_f64 v[8:9], v[88:89], v[106:107]
	v_mul_f64 v[10:11], v[86:87], v[106:107]
	;; [unrolled: 1-line block ×3, first 2 shown]
	s_waitcnt lgkmcnt(2)
	v_mul_f64 v[100:101], v[115:116], v[191:192]
	v_mul_f64 v[102:103], v[113:114], v[191:192]
	;; [unrolled: 1-line block ×4, first 2 shown]
	global_load_b128 v[189:192], v[4:5], off offset:48
	v_fma_f64 v[0:1], v[38:39], v[86:87], -v[8:9]
	s_waitcnt lgkmcnt(1)
	v_mul_f64 v[8:9], v[123:124], v[208:209]
	v_fma_f64 v[193:194], v[36:37], v[111:112], v[90:91]
	v_add_co_u32 v90, vcc_lo, 0x1000, v195
	v_add_co_ci_u32_e32 v91, vcc_lo, 0, v200, vcc_lo
	v_mul_f64 v[200:201], v[127:128], v[206:207]
	v_mul_f64 v[206:207], v[125:126], v[206:207]
	scratch_store_b64 off, v[0:1], off offset:48 ; 8-byte Folded Spill
	v_fma_f64 v[0:1], v[38:39], v[88:89], v[10:11]
	global_load_b128 v[86:89], v[2:3], off offset:32
	v_mul_f64 v[10:11], v[121:122], v[208:209]
	v_fma_f64 v[8:9], v[18:19], v[121:122], -v[8:9]
	scratch_store_b64 off, v[0:1], off offset:96 ; 8-byte Folded Spill
	scratch_load_b32 v0, off, off offset:308 ; 4-byte Folded Reload
	v_fma_f64 v[10:11], v[18:19], v[123:124], v[10:11]
	s_waitcnt vmcnt(0)
	v_mul_i32_i24_e32 v92, 6, v0
	s_delay_alu instid0(VALU_DEP_1) | instskip(NEXT) | instid1(VALU_DEP_1)
	v_lshlrev_b64 v[2:3], 4, v[92:93]
	v_add_co_u32 v0, vcc_lo, s8, v2
	s_delay_alu instid0(VALU_DEP_2) | instskip(SKIP_1) | instid1(VALU_DEP_3)
	v_add_co_ci_u32_e32 v1, vcc_lo, s9, v3, vcc_lo
	v_fma_f64 v[2:3], v[30:31], v[113:114], -v[100:101]
	v_add_co_u32 v100, vcc_lo, 0x1000, v0
	s_delay_alu instid0(VALU_DEP_3)
	v_add_co_ci_u32_e32 v101, vcc_lo, 0, v1, vcc_lo
	s_waitcnt lgkmcnt(0)
	v_mul_f64 v[113:114], v[131:132], v[82:83]
	global_load_b128 v[72:75], v[100:101], off offset:1280
	scratch_store_b64 off, v[2:3], off offset:64 ; 8-byte Folded Spill
	v_fma_f64 v[2:3], v[30:31], v[115:116], v[102:103]
	v_fma_f64 v[102:103], v[28:29], v[117:118], -v[137:138]
	v_fma_f64 v[137:138], v[28:29], v[119:120], v[139:140]
	v_mul_f64 v[117:118], v[135:136], v[80:81]
	v_mul_f64 v[119:120], v[133:134], v[80:81]
	ds_load_2addr_b64 v[78:81], v65 offset0:81 offset1:130
	v_fma_f64 v[139:140], v[16:17], v[125:126], -v[200:201]
	v_fma_f64 v[200:201], v[16:17], v[127:128], v[206:207]
	v_add_co_u32 v127, vcc_lo, 0x1500, v0
	v_add_co_ci_u32_e32 v128, vcc_lo, 0, v1, vcc_lo
	v_mul_f64 v[115:116], v[129:130], v[82:83]
	v_fma_f64 v[129:130], v[14:15], v[129:130], -v[113:114]
	s_waitcnt lgkmcnt(0)
	v_mul_f64 v[121:122], v[143:144], v[80:81]
	v_mul_f64 v[123:124], v[141:142], v[80:81]
	ds_load_2addr_b64 v[80:83], v214 offset0:27 offset1:76
	v_mul_f64 v[125:126], v[145:146], v[78:79]
	scratch_store_b64 off, v[2:3], off offset:112 ; 8-byte Folded Spill
	v_add_nc_u32_e32 v3, 0x3800, v222
	v_add_nc_u32_e32 v2, 0x4000, v222
	ds_load_2addr_b64 v[64:67], v3 offset0:119 offset1:168
	s_waitcnt lgkmcnt(1)
	v_mul_f64 v[206:207], v[149:150], v[82:83]
	v_mul_f64 v[208:209], v[155:156], v[80:81]
	;; [unrolled: 1-line block ×3, first 2 shown]
	v_fma_f64 v[131:132], v[14:15], v[131:132], v[115:116]
	global_load_b128 v[113:116], v[90:91], off offset:1344
	v_fma_f64 v[4:5], v[26:27], v[141:142], -v[121:122]
	v_fma_f64 v[141:142], v[26:27], v[143:144], v[123:124]
	ds_load_2addr_b64 v[121:124], v60 offset0:201 offset1:250
	v_add_co_u32 v60, vcc_lo, 0x1540, v0
	scratch_load_b32 v0, off, off offset:400 ; 4-byte Folded Reload
	v_add_co_ci_u32_e32 v61, vcc_lo, 0, v1, vcc_lo
	global_load_b128 v[60:63], v[60:61], off offset:16
	v_mul_f64 v[6:7], v[111:112], v[104:105]
	s_delay_alu instid0(VALU_DEP_1)
	v_fma_f64 v[6:7], v[36:37], v[109:110], -v[6:7]
	global_load_b128 v[109:112], v[90:91], off offset:1280
	v_mul_f64 v[90:91], v[147:148], v[78:79]
	global_load_b128 v[76:79], v[100:101], off offset:1344
	v_fma_f64 v[100:101], v[12:13], v[133:134], -v[117:118]
	v_fma_f64 v[133:134], v[12:13], v[135:136], v[119:120]
	v_mul_f64 v[135:136], v[151:152], v[82:83]
	s_clause 0x1
	global_load_b128 v[117:120], v[94:95], off offset:1280
	global_load_b128 v[80:83], v[127:128], off offset:32
	v_fma_f64 v[143:144], v[24:25], v[145:146], -v[90:91]
	s_waitcnt lgkmcnt(1)
	v_mul_f64 v[90:91], v[159:160], v[66:67]
	v_mul_f64 v[66:67], v[157:158], v[66:67]
	v_fma_f64 v[145:146], v[24:25], v[147:148], v[125:126]
	v_mul_f64 v[125:126], v[163:164], v[64:65]
	v_fma_f64 v[94:95], v[22:23], v[149:150], -v[135:136]
	v_fma_f64 v[135:136], v[22:23], v[151:152], v[206:207]
	v_mul_f64 v[151:152], v[161:162], v[64:65]
	v_fma_f64 v[147:148], v[20:21], v[153:154], -v[208:209]
	v_fma_f64 v[149:150], v[20:21], v[155:156], v[214:215]
	s_waitcnt lgkmcnt(0)
	v_mul_f64 v[153:154], v[167:168], v[123:124]
	v_mul_f64 v[155:156], v[165:166], v[123:124]
	;; [unrolled: 1-line block ×4, first 2 shown]
	global_load_b128 v[121:124], v[127:128], off offset:16
	v_add_f64 v[24:25], v[131:132], v[137:138]
	v_fma_f64 v[157:158], v[58:59], v[157:158], -v[90:91]
	v_fma_f64 v[159:160], v[58:59], v[159:160], v[66:67]
	ds_load_2addr_b64 v[64:67], v2 offset0:157 offset1:206
	v_fma_f64 v[161:162], v[56:57], v[161:162], -v[125:126]
	v_fma_f64 v[151:152], v[56:57], v[163:164], v[151:152]
	ds_load_2addr_b64 v[56:59], v216 offset0:65 offset1:114
	v_fma_f64 v[153:154], v[54:55], v[165:166], -v[153:154]
	v_fma_f64 v[155:156], v[54:55], v[167:168], v[155:156]
	v_fma_f64 v[165:166], v[52:53], v[169:170], -v[206:207]
	v_fma_f64 v[167:168], v[52:53], v[171:172], v[208:209]
	s_waitcnt lgkmcnt(1)
	v_mul_f64 v[90:91], v[175:176], v[66:67]
	v_mul_f64 v[66:67], v[173:174], v[66:67]
	;; [unrolled: 1-line block ×4, first 2 shown]
	s_waitcnt lgkmcnt(0)
	v_mul_f64 v[206:207], v[187:188], v[56:57]
	v_mul_f64 v[208:209], v[185:186], v[56:57]
	;; [unrolled: 1-line block ×4, first 2 shown]
	v_fma_f64 v[173:174], v[50:51], v[173:174], -v[90:91]
	v_fma_f64 v[175:176], v[50:51], v[175:176], v[66:67]
	v_fma_f64 v[177:178], v[48:49], v[177:178], -v[125:126]
	v_fma_f64 v[179:180], v[48:49], v[179:180], v[64:65]
	v_fma_f64 v[163:164], v[46:47], v[181:182], -v[163:164]
	v_fma_f64 v[169:170], v[46:47], v[183:184], v[169:170]
	v_fma_f64 v[181:182], v[44:45], v[185:186], -v[206:207]
	v_fma_f64 v[183:184], v[44:45], v[187:188], v[208:209]
	s_waitcnt vmcnt(6)
	v_mul_i32_i24_e32 v92, 6, v0
	s_delay_alu instid0(VALU_DEP_1) | instskip(NEXT) | instid1(VALU_DEP_1)
	v_lshlrev_b64 v[52:53], 4, v[92:93]
	v_add_co_u32 v0, vcc_lo, s8, v52
	s_delay_alu instid0(VALU_DEP_2)
	v_add_co_ci_u32_e32 v1, vcc_lo, s9, v53, vcc_lo
	global_load_b128 v[52:55], v[127:128], off offset:48
	v_add_co_u32 v171, vcc_lo, 0x1500, v0
	v_add_co_ci_u32_e32 v172, vcc_lo, 0, v1, vcc_lo
	v_add_co_u32 v56, vcc_lo, 0x1540, v0
	v_add_co_ci_u32_e32 v57, vcc_lo, 0, v1, vcc_lo
	;; [unrolled: 2-line block ×3, first 2 shown]
	s_clause 0x3
	global_load_b128 v[56:59], v[56:57], off offset:16
	global_load_b128 v[48:51], v[92:93], off offset:1280
	global_load_b128 v[64:67], v[92:93], off offset:1344
	global_load_b128 v[90:93], v[171:172], off offset:16
	scratch_load_b128 v[12:15], off, off offset:440 ; 16-byte Folded Reload
	v_add_nc_u32_e32 v0, 0x2c00, v222
	ds_load_2addr_b64 v[36:39], v218 offset0:87 offset1:136
	s_clause 0x1
	scratch_load_b128 v[224:227], off, off offset:316
	scratch_load_b128 v[104:107], off, off offset:156
	v_add_nc_u32_e32 v1, 0x1400, v222
	ds_load_2addr_b64 v[44:47], v0 offset0:111 offset1:160
	v_add_nc_u32_e32 v0, 0x2800, v222
	global_load_b128 v[125:128], v[171:172], off offset:48
	s_clause 0x1
	scratch_load_b128 v[20:23], off, off offset:380
	scratch_load_b128 v[16:19], off, off offset:348
	ds_load_2addr_b64 v[30:33], v0 offset0:43 offset1:92
	s_waitcnt lgkmcnt(1)
	v_mul_f64 v[185:186], v[204:205], v[46:47]
	v_mul_f64 v[46:47], v[202:203], v[46:47]
	;; [unrolled: 1-line block ×4, first 2 shown]
	s_delay_alu instid0(VALU_DEP_4) | instskip(NEXT) | instid1(VALU_DEP_4)
	v_fma_f64 v[185:186], v[42:43], v[202:203], -v[185:186]
	v_fma_f64 v[202:203], v[42:43], v[204:205], v[46:47]
	ds_load_2addr_b64 v[42:45], v218 offset0:185 offset1:234
	v_fma_f64 v[187:188], v[40:41], v[189:190], -v[187:188]
	v_fma_f64 v[189:190], v[40:41], v[191:192], v[206:207]
	s_waitcnt vmcnt(15) lgkmcnt(0)
	v_mul_f64 v[46:47], v[111:112], v[44:45]
	v_mul_f64 v[44:45], v[109:110], v[44:45]
	;; [unrolled: 1-line block ×4, first 2 shown]
	ds_load_2addr_b64 v[40:43], v3 offset0:21 offset1:70
	s_waitcnt vmcnt(5)
	v_fma_f64 v[206:207], v[14:15], v[109:110], -v[46:47]
	v_fma_f64 v[208:209], v[14:15], v[111:112], v[44:45]
	v_fma_f64 v[72:73], v[12:13], v[72:73], -v[191:192]
	v_fma_f64 v[74:75], v[12:13], v[74:75], v[204:205]
	scratch_load_b128 v[12:15], off, off offset:424 ; 16-byte Folded Reload
	s_waitcnt lgkmcnt(0)
	v_mul_f64 v[109:110], v[115:116], v[42:43]
	v_mul_f64 v[42:43], v[113:114], v[42:43]
	v_mul_f64 v[111:112], v[78:79], v[40:41]
	v_mul_f64 v[191:192], v[76:77], v[40:41]
	ds_load_2addr_b64 v[44:47], v108 offset0:103 offset1:152
	s_waitcnt lgkmcnt(0)
	v_mul_f64 v[204:205], v[70:71], v[46:47]
	v_mul_f64 v[46:47], v[68:69], v[46:47]
	;; [unrolled: 1-line block ×4, first 2 shown]
	s_waitcnt vmcnt(0)
	v_fma_f64 v[216:217], v[14:15], v[113:114], -v[109:110]
	v_fma_f64 v[218:219], v[14:15], v[115:116], v[42:43]
	v_fma_f64 v[76:77], v[12:13], v[76:77], -v[111:112]
	v_fma_f64 v[191:192], v[12:13], v[78:79], v[191:192]
	scratch_load_b128 v[12:15], off, off offset:408 ; 16-byte Folded Reload
	ds_load_2addr_b64 v[40:43], v221 offset0:179 offset1:228
	s_clause 0x1
	global_load_b128 v[109:112], v[84:85], off offset:48
	global_load_b128 v[113:116], v[171:172], off offset:32
	v_mul_f64 v[78:79], v[119:120], v[36:37]
	v_mul_f64 v[84:85], v[117:118], v[36:37]
	ds_load_2addr_b64 v[34:37], v2 offset0:59 offset1:108
	s_waitcnt lgkmcnt(1)
	v_mul_f64 v[28:29], v[210:211], v[40:41]
	v_fma_f64 v[117:118], v[224:225], v[117:118], -v[78:79]
	s_waitcnt lgkmcnt(0)
	v_mul_f64 v[78:79], v[62:63], v[36:37]
	v_mul_f64 v[36:37], v[60:61], v[36:37]
	v_fma_f64 v[119:120], v[224:225], v[119:120], v[84:85]
	s_waitcnt vmcnt(2)
	v_fma_f64 v[68:69], v[14:15], v[68:69], -v[204:205]
	v_fma_f64 v[70:71], v[14:15], v[70:71], v[46:47]
	v_fma_f64 v[80:81], v[12:13], v[80:81], -v[214:215]
	v_fma_f64 v[204:205], v[12:13], v[82:83], v[44:45]
	scratch_load_b128 v[12:15], off, off offset:332 ; 16-byte Folded Reload
	v_mul_f64 v[46:47], v[212:213], v[40:41]
	v_mul_f64 v[40:41], v[88:89], v[30:31]
	;; [unrolled: 1-line block ×3, first 2 shown]
	s_waitcnt vmcnt(2)
	v_mul_f64 v[246:247], v[111:112], v[32:33]
	v_mul_f64 v[248:249], v[109:110], v[32:33]
	s_waitcnt vmcnt(0)
	v_fma_f64 v[212:213], v[12:13], v[212:213], v[28:29]
	ds_load_2addr_b64 v[28:31], v1 offset0:95 offset1:144
	scratch_load_b32 v1, off, off offset:396 ; 4-byte Folded Reload
	v_fma_f64 v[210:211], v[12:13], v[210:211], -v[46:47]
	v_fma_f64 v[12:13], v[104:105], v[86:87], -v[40:41]
	v_fma_f64 v[40:41], v[104:105], v[88:89], v[44:45]
	ds_load_2addr_b64 v[44:47], v0 offset0:141 offset1:190
	v_mul_i32_i24_e32 v0, 0xffffffd0, v220
	scratch_load_b64 v[104:105], off, off offset:48 ; 8-byte Folded Reload
	s_waitcnt lgkmcnt(1)
	v_mul_f64 v[82:83], v[123:124], v[30:31]
	v_mul_f64 v[30:31], v[121:122], v[30:31]
	s_delay_alu instid0(VALU_DEP_2) | instskip(SKIP_3) | instid1(VALU_DEP_4)
	v_fma_f64 v[26:27], v[18:19], v[121:122], -v[82:83]
	s_waitcnt lgkmcnt(0)
	v_mul_f64 v[82:83], v[127:128], v[44:45]
	v_mul_f64 v[44:45], v[125:126], v[44:45]
	v_fma_f64 v[88:89], v[18:19], v[123:124], v[30:31]
	v_mul_f64 v[18:19], v[54:55], v[46:47]
	v_mul_f64 v[46:47], v[52:53], v[46:47]
	;; [unrolled: 1-line block ×4, first 2 shown]
	s_waitcnt vmcnt(1)
	v_add_nc_u32_e32 v0, v1, v0
	ds_load_b64 v[86:87], v0
	scratch_load_b128 v[0:3], off, off offset:364 ; 16-byte Folded Reload
	s_waitcnt vmcnt(0)
	v_fma_f64 v[125:126], v[0:1], v[125:126], -v[82:83]
	v_fma_f64 v[127:128], v[0:1], v[127:128], v[44:45]
	scratch_load_b64 v[0:1], off, off offset:236 ; 8-byte Folded Reload
	v_fma_f64 v[84:85], v[22:23], v[62:63], v[36:37]
	v_mul_f64 v[36:37], v[50:51], v[38:39]
	v_mul_f64 v[38:39], v[48:49], v[38:39]
	;; [unrolled: 1-line block ×4, first 2 shown]
	v_fma_f64 v[60:61], v[22:23], v[60:61], -v[78:79]
	v_mul_f64 v[78:79], v[92:93], v[28:29]
	v_mul_f64 v[28:29], v[90:91], v[28:29]
	v_fma_f64 v[121:122], v[2:3], v[54:55], v[46:47]
	v_add_f64 v[46:47], v[94:95], v[139:140]
	v_fma_f64 v[223:224], v[20:21], v[58:59], v[34:35]
	v_add_f64 v[34:35], v[94:95], -v[139:140]
	v_add_f64 v[94:95], v[185:186], v[165:166]
	v_add_f64 v[139:140], v[183:184], v[218:219]
	v_fma_f64 v[171:172], v[20:21], v[56:57], -v[30:31]
	v_add_f64 v[30:31], v[131:132], -v[137:138]
	v_add_f64 v[20:21], v[129:130], -v[102:103]
	v_add_f64 v[22:23], v[193:194], v[10:11]
	v_add_f64 v[10:11], v[193:194], -v[10:11]
	v_add_f64 v[82:83], v[202:203], v[167:168]
	v_add_f64 v[137:138], v[208:209], v[179:180]
	;; [unrolled: 1-line block ×3, first 2 shown]
	v_add_f64 v[56:57], v[133:134], -v[159:160]
	v_add_f64 v[58:59], v[147:148], -v[173:174]
	;; [unrolled: 1-line block ×3, first 2 shown]
	v_fma_f64 v[18:19], v[2:3], v[52:53], -v[18:19]
	v_add_f64 v[52:53], v[135:136], -v[200:201]
	v_add_f64 v[54:55], v[145:146], -v[155:156]
	v_add_f64 v[145:146], v[181:182], v[216:217]
	v_fma_f64 v[123:124], v[226:227], v[48:49], -v[36:37]
	v_fma_f64 v[225:226], v[226:227], v[50:51], v[38:39]
	v_fma_f64 v[220:221], v[14:15], v[64:65], -v[62:63]
	v_fma_f64 v[227:228], v[14:15], v[66:67], v[42:43]
	v_add_f64 v[14:15], v[6:7], -v[8:9]
	v_add_f64 v[6:7], v[6:7], v[8:9]
	v_add_f64 v[8:9], v[129:130], v[102:103]
	v_fma_f64 v[214:215], v[16:17], v[90:91], -v[78:79]
	v_fma_f64 v[229:230], v[16:17], v[92:93], v[28:29]
	v_add_f64 v[16:17], v[4:5], -v[12:13]
	v_add_f64 v[4:5], v[4:5], v[12:13]
	v_add_f64 v[48:49], v[100:101], v[157:158]
	v_add_f64 v[64:65], v[163:164], -v[161:162]
	v_add_f64 v[92:93], v[163:164], v[161:162]
	v_add_f64 v[50:51], v[143:144], v[153:154]
	v_add_f64 v[62:63], v[185:186], -v[165:166]
	v_add_f64 v[38:39], v[100:101], -v[157:158]
	v_add_f64 v[66:67], v[149:150], v[175:176]
	v_add_f64 v[100:101], v[149:150], -v[175:176]
	v_add_f64 v[149:150], v[183:184], -v[218:219]
	;; [unrolled: 1-line block ×3, first 2 shown]
	v_add_f64 v[28:29], v[141:142], v[40:41]
	v_add_f64 v[36:37], v[143:144], -v[153:154]
	v_add_f64 v[78:79], v[169:170], v[151:152]
	v_add_f64 v[129:130], v[169:170], -v[151:152]
	;; [unrolled: 2-line block ×3, first 2 shown]
	v_add_f64 v[40:41], v[135:136], v[200:201]
	v_add_f64 v[42:43], v[133:134], v[159:160]
	;; [unrolled: 1-line block ×3, first 2 shown]
	v_add_f64 v[102:103], v[202:203], -v[167:168]
	v_add_f64 v[133:134], v[187:188], -v[68:69]
	v_add_f64 v[143:144], v[206:207], v[177:178]
	v_add_f64 v[68:69], v[187:188], v[68:69]
	v_add_f64 v[147:148], v[208:209], -v[179:180]
	v_add_f64 v[155:156], v[22:23], v[24:25]
	v_add_f64 v[151:152], v[72:73], -v[60:61]
	;; [unrolled: 2-line block ×4, first 2 shown]
	v_add_f64 v[54:55], v[54:55], -v[56:57]
	v_add_f64 v[236:237], v[18:19], v[80:81]
	v_add_f64 v[161:162], v[6:7], v[8:9]
	v_add_f64 v[60:61], v[14:15], -v[16:17]
	v_add_f64 v[163:164], v[6:7], -v[4:5]
	;; [unrolled: 1-line block ×4, first 2 shown]
	v_add_f64 v[8:9], v[46:47], v[48:49]
	v_add_f64 v[183:184], v[46:47], -v[50:51]
	v_add_f64 v[185:186], v[50:51], -v[48:49]
	v_add_f64 v[187:188], v[62:63], v[64:65]
	v_add_f64 v[202:203], v[66:67], -v[82:83]
	v_add_f64 v[200:201], v[38:39], -v[34:35]
	v_add_f64 v[72:73], v[16:17], -v[20:21]
	v_add_f64 v[169:170], v[12:13], v[30:31]
	v_add_f64 v[157:158], v[22:23], -v[28:29]
	v_add_f64 v[173:174], v[36:37], v[38:39]
	v_add_f64 v[175:176], v[34:35], -v[36:37]
	v_add_f64 v[36:37], v[36:37], -v[38:39]
	v_add_f64 v[193:194], v[66:67], v[78:79]
	v_add_f64 v[206:207], v[78:79], -v[66:67]
	;; [unrolled: 3-line block ×4, first 2 shown]
	v_add_f64 v[179:180], v[44:45], -v[42:43]
	v_add_f64 v[40:41], v[42:43], -v[40:41]
	;; [unrolled: 1-line block ×4, first 2 shown]
	v_add_f64 v[16:17], v[16:17], v[20:21]
	v_add_f64 v[20:21], v[20:21], -v[14:15]
	v_add_f64 v[62:63], v[62:63], -v[64:65]
	v_add_f64 v[38:39], v[90:91], v[92:93]
	v_add_f64 v[167:168], v[10:11], -v[12:13]
	v_add_f64 v[12:13], v[12:13], -v[30:31]
	;; [unrolled: 1-line block ×3, first 2 shown]
	v_add_f64 v[4:5], v[4:5], v[161:162]
	v_add_f64 v[46:47], v[56:57], -v[52:53]
	v_add_f64 v[56:57], v[102:103], v[129:130]
	v_add_f64 v[28:29], v[28:29], v[155:156]
	v_add_f64 v[155:156], v[90:91], -v[94:95]
	v_mul_f64 v[165:166], v[165:166], s[24:25]
	v_add_f64 v[90:91], v[92:93], -v[90:91]
	v_add_f64 v[50:51], v[50:51], v[8:9]
	v_add_f64 v[92:93], v[94:95], -v[92:93]
	v_add_f64 v[52:53], v[52:53], v[181:182]
	v_add_f64 v[181:182], v[131:132], -v[133:134]
	v_mul_f64 v[54:55], v[54:55], s[22:23]
	v_mul_f64 v[231:232], v[202:203], s[18:19]
	v_mul_f64 v[72:73], v[72:73], s[22:23]
	v_add_f64 v[161:162], v[10:11], v[169:170]
	v_add_f64 v[169:170], v[70:71], v[149:150]
	v_add_f64 v[34:35], v[34:35], v[173:174]
	v_add_f64 v[173:174], v[64:65], -v[58:59]
	v_add_f64 v[58:59], v[58:59], v[187:188]
	v_add_f64 v[187:188], v[137:138], -v[141:142]
	v_add_f64 v[137:138], v[139:140], -v[137:138]
	;; [unrolled: 1-line block ×3, first 2 shown]
	v_add_f64 v[78:79], v[141:142], v[78:79]
	v_add_f64 v[141:142], v[147:148], -v[70:71]
	v_add_f64 v[70:71], v[70:71], -v[149:150]
	;; [unrolled: 1-line block ×3, first 2 shown]
	v_mul_f64 v[64:65], v[157:158], s[18:19]
	v_mul_f64 v[159:160], v[159:160], s[24:25]
	v_add_f64 v[82:83], v[82:83], v[193:194]
	v_add_f64 v[24:25], v[44:45], v[24:25]
	v_add_f64 v[10:11], v[143:144], v[145:146]
	v_add_f64 v[16:17], v[14:15], v[16:17]
	v_mul_f64 v[193:194], v[20:21], s[2:3]
	v_add_f64 v[14:15], v[133:134], v[135:136]
	v_add_f64 v[208:209], v[94:95], v[38:39]
	v_mul_f64 v[38:39], v[163:164], s[18:19]
	v_mul_f64 v[94:95], v[179:180], s[24:25]
	;; [unrolled: 1-line block ×3, first 2 shown]
	v_add_f64 v[133:134], v[133:134], -v[135:136]
	v_add_f64 v[135:136], v[135:136], -v[131:132]
	v_mul_f64 v[12:13], v[12:13], s[22:23]
	v_mul_f64 v[234:235], v[66:67], s[24:25]
	v_add_f64 v[44:45], v[100:101], -v[102:103]
	v_fma_f64 v[163:164], v[163:164], s[18:19], v[165:166]
	v_add_f64 v[102:103], v[102:103], -v[129:130]
	v_add_f64 v[129:130], v[129:130], -v[100:101]
	v_add_f64 v[56:57], v[100:101], v[56:57]
	v_add_f64 v[100:101], v[143:144], -v[68:69]
	v_add_f64 v[143:144], v[145:146], -v[143:144]
	v_add_f64 v[145:146], v[68:69], -v[145:146]
	v_mul_f64 v[62:63], v[62:63], s[22:23]
	v_fma_f64 v[20:21], v[20:21], s[2:3], -v[72:73]
	v_mul_f64 v[92:93], v[92:93], s[24:25]
	v_add_f64 v[147:148], v[147:148], v[169:170]
	v_mul_f64 v[169:170], v[36:37], s[22:23]
	v_mul_f64 v[139:140], v[139:140], s[24:25]
	v_fma_f64 v[216:217], v[22:23], s[16:17], -v[64:65]
	v_fma_f64 v[157:158], v[157:158], s[18:19], v[159:160]
	v_fma_f64 v[22:23], v[22:23], s[4:5], -v[159:160]
	v_mul_f64 v[64:65], v[185:186], s[24:25]
	v_add_f64 v[68:69], v[68:69], v[10:11]
	s_waitcnt lgkmcnt(0)
	v_add_f64 v[10:11], v[86:87], v[28:29]
	v_fma_f64 v[159:160], v[60:61], s[14:15], -v[193:194]
	v_add_f64 v[131:132], v[131:132], v[14:15]
	v_mul_f64 v[14:15], v[30:31], s[2:3]
	v_fma_f64 v[185:186], v[6:7], s[16:17], -v[38:39]
	v_fma_f64 v[6:7], v[6:7], s[4:5], -v[165:166]
	v_mul_f64 v[165:166], v[183:184], s[18:19]
	v_fma_f64 v[60:61], v[60:61], s[10:11], v[72:73]
	v_mul_f64 v[72:73], v[46:47], s[2:3]
	v_fma_f64 v[177:178], v[177:178], s[18:19], v[94:95]
	v_fma_f64 v[179:180], v[40:41], s[16:17], -v[179:180]
	v_fma_f64 v[40:41], v[40:41], s[4:5], -v[94:95]
	v_mul_f64 v[94:95], v[173:174], s[2:3]
	v_fma_f64 v[30:31], v[30:31], s[2:3], -v[12:13]
	v_fma_f64 v[46:47], v[46:47], s[2:3], -v[54:55]
	v_mul_f64 v[86:87], v[200:201], s[2:3]
	v_mul_f64 v[133:134], v[133:134], s[22:23]
	;; [unrolled: 1-line block ×3, first 2 shown]
	v_fma_f64 v[20:21], v[16:17], s[0:1], v[20:21]
	v_fma_f64 v[183:184], v[183:184], s[18:19], v[64:65]
	v_fma_f64 v[218:219], v[167:168], s[14:15], -v[14:15]
	v_fma_f64 v[167:168], v[167:168], s[10:11], v[12:13]
	ds_load_2addr_b64 v[12:15], v108 offset0:5 offset1:54
	v_fma_f64 v[165:166], v[42:43], s[16:17], -v[165:166]
	v_fma_f64 v[42:43], v[42:43], s[4:5], -v[64:65]
	;; [unrolled: 1-line block ×3, first 2 shown]
	v_fma_f64 v[189:190], v[189:190], s[10:11], v[54:55]
	v_fma_f64 v[54:55], v[202:203], s[18:19], v[234:235]
	v_fma_f64 v[202:203], v[206:207], s[4:5], -v[234:235]
	v_add_f64 v[234:235], v[26:27], v[76:77]
	v_fma_f64 v[32:33], v[16:17], s[0:1], v[60:61]
	v_fma_f64 v[30:31], v[161:162], s[0:1], v[30:31]
	v_fma_f64 v[86:87], v[175:176], s[14:15], -v[86:87]
	v_fma_f64 v[175:176], v[175:176], s[10:11], v[169:170]
	v_fma_f64 v[169:170], v[200:201], s[2:3], -v[169:170]
	v_mul_f64 v[200:201], v[155:156], s[18:19]
	v_fma_f64 v[155:156], v[155:156], s[18:19], v[92:93]
	s_waitcnt lgkmcnt(0)
	v_mul_f64 v[238:239], v[115:116], v[14:15]
	v_mul_f64 v[240:241], v[113:114], v[14:15]
	;; [unrolled: 1-line block ×6, first 2 shown]
	v_fma_f64 v[60:61], v[161:162], s[0:1], v[218:219]
	v_fma_f64 v[72:73], v[52:53], s[0:1], v[72:73]
	v_fma_f64 v[200:201], v[90:91], s[16:17], -v[200:201]
	v_fma_f64 v[90:91], v[90:91], s[4:5], -v[92:93]
	v_fma_f64 v[12:13], v[44:45], s[14:15], -v[12:13]
	s_waitcnt vmcnt(0)
	v_add_f64 v[8:9], v[0:1], v[4:5]
	scratch_load_b32 v0, off, off offset:20 ; 4-byte Folded Reload
	v_fma_f64 v[218:219], v[56:57], s[0:1], v[12:13]
	v_fma_f64 v[4:5], v[4:5], s[20:21], v[8:9]
	s_delay_alu instid0(VALU_DEP_1)
	v_add_f64 v[6:7], v[6:7], v[4:5]
	v_add_f64 v[163:164], v[163:164], v[4:5]
	;; [unrolled: 1-line block ×3, first 2 shown]
	s_waitcnt vmcnt(0)
	ds_load_b64 v[36:37], v0
	scratch_load_b32 v0, off, off offset:4  ; 4-byte Folded Reload
	s_waitcnt lgkmcnt(0)
	v_add_f64 v[38:39], v[36:37], v[24:25]
	s_waitcnt vmcnt(0)
	ds_load_b64 v[193:194], v0
	scratch_load_b64 v[0:1], off, off offset:228 ; 8-byte Folded Reload
	s_waitcnt lgkmcnt(0)
	v_add_f64 v[66:67], v[193:194], v[82:83]
	v_fma_f64 v[193:194], v[206:207], s[16:17], -v[231:232]
	v_add_f64 v[206:207], v[18:19], -v[80:81]
	v_fma_f64 v[231:232], v[48:49], s[14:15], -v[94:95]
	v_fma_f64 v[48:49], v[48:49], s[10:11], v[62:63]
	v_fma_f64 v[62:63], v[173:174], s[2:3], -v[62:63]
	v_add_f64 v[173:174], v[26:27], -v[76:77]
	v_fma_f64 v[26:27], v[44:45], s[10:11], v[14:15]
	v_fma_f64 v[44:45], v[161:162], s[0:1], v[167:168]
	v_mul_f64 v[167:168], v[70:71], s[22:23]
	v_fma_f64 v[76:77], v[34:35], s[0:1], v[175:176]
	v_fma_f64 v[14:15], v[129:130], s[2:3], -v[14:15]
	v_fma_f64 v[80:81], v[34:35], s[0:1], v[86:87]
	v_fma_f64 v[86:87], v[52:53], s[0:1], v[189:190]
	;; [unrolled: 1-line block ×3, first 2 shown]
	v_mul_f64 v[46:47], v[187:188], s[18:19]
	v_add_f64 v[129:130], v[74:75], v[84:85]
	v_add_f64 v[189:190], v[121:122], v[204:205]
	v_fma_f64 v[187:188], v[187:188], s[18:19], v[139:140]
	v_add_f64 v[121:122], v[121:122], -v[204:205]
	v_add_f64 v[204:205], v[104:105], v[210:211]
	v_fma_f64 v[82:83], v[82:83], s[20:21], v[66:67]
	v_fma_f64 v[175:176], v[58:59], s[0:1], v[231:232]
	v_fma_f64 v[185:186], v[58:59], s[0:1], v[62:63]
	v_fma_f64 v[231:232], v[56:57], s[0:1], v[26:27]
	v_fma_f64 v[250:251], v[141:142], s[10:11], v[167:168]
	v_fma_f64 v[252:253], v[137:138], s[16:17], -v[46:47]
	v_fma_f64 v[137:138], v[137:138], s[4:5], -v[139:140]
	;; [unrolled: 1-line block ×3, first 2 shown]
	v_add_f64 v[167:168], v[214:215], -v[220:221]
	v_add_f64 v[202:203], v[202:203], v[82:83]
	v_add_f64 v[193:194], v[193:194], v[82:83]
	s_waitcnt vmcnt(0)
	v_add_f64 v[36:37], v[0:1], v[50:51]
	scratch_load_b64 v[0:1], off, off offset:220 ; 8-byte Folded Reload
	s_waitcnt vmcnt(0)
	v_add_f64 v[64:65], v[0:1], v[208:209]
	scratch_load_b32 v0, off, off offset:140 ; 4-byte Folded Reload
	v_fma_f64 v[161:162], v[208:209], s[20:21], v[64:65]
	v_mad_u64_u32 v[208:209], null, s26, v198, 0
	s_delay_alu instid0(VALU_DEP_2)
	v_add_f64 v[90:91], v[90:91], v[161:162]
	v_add_f64 v[200:201], v[200:201], v[161:162]
	;; [unrolled: 1-line block ×3, first 2 shown]
	s_waitcnt vmcnt(0)
	ds_load_b64 v[18:19], v0
	scratch_load_b32 v0, off, off offset:136 ; 4-byte Folded Reload
	s_waitcnt lgkmcnt(0)
	v_add_f64 v[94:95], v[18:19], v[78:79]
	v_fma_f64 v[18:19], v[28:29], s[20:21], v[10:11]
	v_fma_f64 v[28:29], v[16:17], s[0:1], v[159:160]
	v_fma_f64 v[16:17], v[24:25], s[20:21], v[38:39]
	v_fma_f64 v[24:25], v[50:51], s[20:21], v[36:37]
	v_fma_f64 v[50:51], v[34:35], s[0:1], v[169:170]
	v_fma_f64 v[169:170], v[58:59], s[0:1], v[48:49]
	v_mul_f64 v[34:35], v[135:136], s[2:3]
	v_add_f64 v[159:160], v[88:89], v[191:192]
	v_fma_f64 v[2:3], v[78:79], s[20:21], v[94:95]
	v_add_f64 v[70:71], v[157:158], v[18:19]
	v_add_f64 v[157:158], v[216:217], v[18:19]
	;; [unrolled: 1-line block ×3, first 2 shown]
	v_mul_f64 v[18:19], v[100:101], s[18:19]
	v_add_f64 v[40:41], v[40:41], v[16:17]
	v_add_f64 v[42:43], v[42:43], v[24:25]
	;; [unrolled: 1-line block ×7, first 2 shown]
	v_add_f64 v[24:25], v[6:7], -v[30:31]
	v_fma_f64 v[216:217], v[56:57], s[0:1], v[14:15]
	v_add_f64 v[177:178], v[129:130], v[159:160]
	v_add_f64 v[78:79], v[202:203], -v[185:186]
	v_fma_f64 v[100:101], v[100:101], s[18:19], v[145:146]
	v_add_f64 v[183:184], v[153:154], v[234:235]
	scratch_load_b64 v[14:15], off, off offset:64 ; 8-byte Folded Reload
	v_add_f64 v[6:7], v[32:33], v[70:71]
	v_add_f64 v[30:31], v[157:158], -v[28:29]
	v_add_f64 v[26:27], v[20:21], v[22:23]
	v_fma_f64 v[254:255], v[143:144], s[16:17], -v[18:19]
	v_add_f64 v[18:19], v[22:23], -v[20:21]
	v_add_f64 v[22:23], v[28:29], v[157:158]
	v_add_f64 v[20:21], v[4:5], -v[60:61]
	v_add_f64 v[28:29], v[60:61], v[4:5]
	v_add_f64 v[4:5], v[163:164], -v[44:45]
	scratch_store_b128 off, v[8:11], off offset:24 ; 16-byte Folded Spill
	scratch_load_b128 v[10:13], off, off offset:196 ; 16-byte Folded Reload
	v_mul_lo_u32 v8, s27, v198
	v_mul_lo_u32 v9, s26, v199
	v_fma_f64 v[198:199], v[181:182], s[14:15], -v[34:35]
	v_add_f64 v[34:35], v[70:71], -v[32:33]
	v_add_f64 v[32:33], v[44:45], v[163:164]
	v_add_f64 v[46:47], v[40:41], -v[50:51]
	v_add_f64 v[44:45], v[52:53], v[42:43]
	;; [unrolled: 2-line block ×4, first 2 shown]
	v_add3_u32 v209, v209, v9, v8
	v_fma_f64 v[181:182], v[181:182], s[10:11], v[133:134]
	v_add_f64 v[60:61], v[86:87], v[179:180]
	v_add_f64 v[70:71], v[175:176], v[193:194]
	v_add_f64 v[157:158], v[88:89], -v[191:192]
	v_add_f64 v[163:164], v[229:230], v[227:228]
	v_add_f64 v[177:178], v[189:190], v[177:178]
	v_add_f64 v[48:49], v[165:166], -v[72:73]
	v_add_f64 v[56:57], v[72:73], v[165:166]
	v_add_f64 v[72:73], v[155:156], -v[231:232]
	v_add_f64 v[88:89], v[231:232], v[155:156]
	v_add_f64 v[231:232], v[252:253], v[2:3]
	;; [unrolled: 1-line block ×4, first 2 shown]
	v_fma_f64 v[133:134], v[135:136], s[2:3], -v[133:134]
	v_fma_f64 v[135:136], v[143:144], s[4:5], -v[145:146]
	v_add_f64 v[145:146], v[206:207], v[173:174]
	v_add_f64 v[123:124], v[123:124], -v[171:172]
	v_add_f64 v[183:184], v[236:237], v[183:184]
	v_add_f64 v[143:144], v[151:152], -v[206:207]
	scratch_store_b128 off, v[4:7], off offset:4 ; 16-byte Folded Spill
	v_add_f64 v[4:5], v[74:75], -v[84:85]
	v_mul_f64 v[6:7], v[149:150], s[2:3]
	v_add_f64 v[84:85], v[218:219], v[200:201]
	v_fma_f64 v[198:199], v[131:132], s[0:1], v[198:199]
	v_add_f64 v[171:172], v[155:156], v[163:164]
	s_delay_alu instid0(VALU_DEP_4)
	v_fma_f64 v[6:7], v[141:142], s[14:15], -v[6:7]
	s_waitcnt vmcnt(0)
	v_fma_f64 v[96:97], v[10:11], v[96:97], -v[242:243]
	v_fma_f64 v[98:99], v[10:11], v[98:99], v[244:245]
	scratch_load_b64 v[10:11], off, off offset:96 ; 8-byte Folded Reload
	ds_load_b64 v[102:103], v0
	scratch_load_b64 v[0:1], off, off offset:212 ; 8-byte Folded Reload
	v_fma_f64 v[115:116], v[12:13], v[115:116], v[240:241]
	v_fma_f64 v[113:114], v[12:13], v[113:114], -v[238:239]
	scratch_load_b64 v[12:13], off, off offset:112 ; 8-byte Folded Reload
	v_add_f64 v[240:241], v[157:158], -v[4:5]
	v_add_f64 v[141:142], v[127:128], v[115:116]
	v_add_f64 v[149:150], v[125:126], -v[113:114]
	s_waitcnt vmcnt(1)
	v_add_f64 v[92:93], v[0:1], v[68:69]
	v_add_f64 v[0:1], v[54:55], v[82:83]
	;; [unrolled: 1-line block ×4, first 2 shown]
	v_add_f64 v[58:59], v[58:59], -v[80:81]
	v_add_f64 v[80:81], v[90:91], -v[216:217]
	;; [unrolled: 1-line block ×3, first 2 shown]
	v_add_f64 v[82:83], v[185:186], v[202:203]
	v_add_f64 v[86:87], v[193:194], -v[175:176]
	v_fma_f64 v[175:176], v[131:132], s[0:1], v[181:182]
	v_add_f64 v[181:182], v[129:130], -v[189:190]
	v_add_f64 v[185:186], v[189:190], -v[159:160]
	v_fma_f64 v[189:190], v[106:107], v[109:110], -v[246:247]
	v_add_f64 v[179:180], v[187:188], v[2:3]
	v_add_f64 v[193:194], v[10:11], v[212:213]
	;; [unrolled: 1-line block ×3, first 2 shown]
	v_add_f64 v[187:188], v[236:237], -v[234:235]
	v_fma_f64 v[131:132], v[131:132], s[0:1], v[133:134]
	v_fma_f64 v[161:162], v[68:69], s[20:21], v[92:93]
	v_add_f64 v[74:75], v[169:170], v[0:1]
	v_add_f64 v[90:91], v[0:1], -v[169:170]
	v_add_f64 v[0:1], v[206:207], -v[173:174]
	;; [unrolled: 1-line block ×3, first 2 shown]
	v_add_f64 v[169:170], v[214:215], v[220:221]
	v_fma_f64 v[200:201], v[106:107], v[111:112], v[248:249]
	s_waitcnt lgkmcnt(0)
	v_add_f64 v[110:111], v[102:103], v[177:178]
	v_add_f64 v[102:103], v[121:122], -v[157:158]
	v_add_f64 v[157:158], v[121:122], v[157:158]
	v_add_f64 v[106:107], v[104:105], -v[210:211]
	v_add_f64 v[104:105], v[117:118], -v[14:15]
	;; [unrolled: 1-line block ×3, first 2 shown]
	v_add_f64 v[96:97], v[189:190], v[96:97]
	v_add_f64 v[189:190], v[10:11], -v[212:213]
	v_add_f64 v[212:213], v[137:138], v[2:3]
	v_add_f64 v[2:3], v[141:142], -v[163:164]
	v_add_f64 v[121:122], v[4:5], -v[121:122]
	v_add_f64 v[112:113], v[125:126], v[113:114]
	v_add_f64 v[114:115], v[127:128], -v[115:116]
	v_add_f64 v[127:128], v[229:230], -v[227:228]
	;; [unrolled: 1-line block ×4, first 2 shown]
	v_add_f64 v[227:228], v[202:203], v[204:205]
	v_mul_f64 v[185:186], v[185:186], s[24:25]
	v_mul_f64 v[225:226], v[181:182], s[18:19]
	v_add_f64 v[116:117], v[159:160], -v[129:130]
	v_mul_f64 v[129:130], v[240:241], s[2:3]
	v_fma_f64 v[159:160], v[147:148], s[0:1], v[6:7]
	v_add_f64 v[6:7], v[155:156], -v[141:142]
	v_add_f64 v[137:138], v[149:150], -v[167:168]
	v_mul_f64 v[187:188], v[187:188], s[24:25]
	v_add_f64 v[153:154], v[234:235], -v[153:154]
	v_fma_f64 v[218:219], v[147:148], s[0:1], v[250:251]
	v_add_f64 v[155:156], v[163:164], -v[155:156]
	v_add_f64 v[14:15], v[198:199], v[231:232]
	v_add_f64 v[216:217], v[100:101], v[161:162]
	v_add_f64 v[100:101], v[173:174], -v[151:152]
	v_add_f64 v[238:239], v[254:255], v[161:162]
	v_mul_f64 v[8:9], v[0:1], s[22:23]
	scratch_load_b32 v0, off, off           ; 4-byte Folded Reload
	v_add_f64 v[173:174], v[165:166], v[169:170]
	v_add_f64 v[223:224], v[200:201], v[98:99]
	v_add_f64 v[98:99], v[200:201], -v[98:99]
	v_add_f64 v[133:134], v[135:136], v[161:162]
	v_add_f64 v[157:158], v[4:5], v[157:158]
	scratch_load_b64 v[4:5], off, off offset:80 ; 8-byte Folded Reload
	s_waitcnt vmcnt(2)
	v_add_f64 v[191:192], v[119:120], v[12:13]
	v_add_f64 v[118:119], v[119:120], -v[12:13]
	scratch_load_b64 v[12:13], off, off offset:40 ; 8-byte Folded Reload
	v_add_f64 v[161:162], v[141:142], v[171:172]
	v_add_f64 v[171:172], v[167:168], -v[123:124]
	v_mul_f64 v[252:253], v[2:3], s[24:25]
	v_add_f64 v[151:152], v[151:152], v[145:146]
	v_add_f64 v[229:230], v[112:113], -v[169:170]
	v_mul_f64 v[102:103], v[102:103], s[22:23]
	v_add_f64 v[145:146], v[114:115], -v[127:128]
	v_mul_f64 v[242:243], v[125:126], s[18:19]
	v_add_f64 v[236:237], v[127:128], -v[206:207]
	v_add_f64 v[234:235], v[220:221], -v[106:107]
	v_add_f64 v[227:228], v[96:97], v[227:228]
	v_add_f64 v[246:247], v[96:97], -v[204:205]
	v_add_f64 v[248:249], v[106:107], -v[104:105]
	;; [unrolled: 1-line block ×3, first 2 shown]
	v_fma_f64 v[135:136], v[147:148], s[0:1], v[139:140]
	v_fma_f64 v[181:182], v[181:182], s[18:19], v[185:186]
	v_fma_f64 v[225:226], v[116:117], s[16:17], -v[225:226]
	v_fma_f64 v[129:130], v[121:122], s[14:15], -v[129:130]
	;; [unrolled: 1-line block ×3, first 2 shown]
	v_add_f64 v[167:168], v[149:150], v[167:168]
	v_mul_f64 v[185:186], v[6:7], s[18:19]
	v_add_f64 v[127:128], v[114:115], v[127:128]
	v_add_f64 v[149:150], v[123:124], -v[149:150]
	v_mul_f64 v[163:164], v[137:138], s[22:23]
	v_add_f64 v[10:11], v[169:170], -v[165:166]
	v_mul_f64 v[200:201], v[100:101], s[2:3]
	v_fma_f64 v[177:178], v[177:178], s[20:21], v[110:111]
	v_fma_f64 v[147:148], v[143:144], s[10:11], v[8:9]
	;; [unrolled: 1-line block ×3, first 2 shown]
	v_add_f64 v[173:174], v[112:113], v[173:174]
	v_add_f64 v[112:113], v[165:166], -v[112:113]
	v_add_f64 v[114:115], v[206:207], -v[114:115]
	v_fma_f64 v[8:9], v[100:101], s[2:3], -v[8:9]
	v_fma_f64 v[100:101], v[153:154], s[4:5], -v[187:188]
	v_add_f64 v[106:107], v[220:221], v[106:107]
	v_add_f64 v[210:211], v[191:192], v[193:194]
	v_add_f64 v[244:245], v[191:192], -v[223:224]
	v_add_f64 v[250:251], v[189:190], -v[118:119]
	;; [unrolled: 1-line block ×4, first 2 shown]
	v_fma_f64 v[6:7], v[6:7], s[18:19], v[252:253]
	ds_load_b64 v[2:3], v222
	v_mul_f64 v[229:230], v[229:230], s[24:25]
	v_fma_f64 v[120:121], v[121:122], s[10:11], v[102:103]
	v_mul_f64 v[254:255], v[145:146], s[22:23]
	v_fma_f64 v[169:170], v[153:154], s[16:17], -v[242:243]
	v_add_f64 v[153:154], v[104:105], -v[220:221]
	v_mul_f64 v[187:188], v[234:235], s[22:23]
	v_fma_f64 v[102:103], v[240:241], s[2:3], -v[102:103]
	v_mul_f64 v[242:243], v[246:247], s[24:25]
	v_add_f64 v[246:247], v[118:119], -v[98:99]
	v_add_f64 v[220:221], v[216:217], -v[218:219]
	v_add_f64 v[122:123], v[123:124], v[167:168]
	v_fma_f64 v[167:168], v[155:156], s[16:17], -v[185:186]
	v_add_f64 v[127:128], v[206:207], v[127:128]
	v_fma_f64 v[155:156], v[155:156], s[4:5], -v[252:253]
	v_fma_f64 v[200:201], v[143:144], s[14:15], -v[200:201]
	v_fma_f64 v[146:147], v[151:152], s[0:1], v[147:148]
	v_mul_f64 v[165:166], v[112:113], s[18:19]
	v_fma_f64 v[8:9], v[151:152], s[0:1], v[8:9]
	v_add_f64 v[210:211], v[223:224], v[210:211]
	v_add_f64 v[223:224], v[223:224], -v[193:194]
	v_mul_f64 v[193:194], v[96:97], s[18:19]
	v_mul_f64 v[204:205], v[250:251], s[2:3]
	v_fma_f64 v[112:113], v[112:113], s[18:19], v[229:230]
	v_fma_f64 v[96:97], v[96:97], s[18:19], v[242:243]
	;; [unrolled: 1-line block ×3, first 2 shown]
	v_fma_f64 v[165:166], v[10:11], s[16:17], -v[165:166]
	v_fma_f64 v[10:11], v[10:11], s[4:5], -v[229:230]
	v_add_f64 v[229:230], v[104:105], v[106:107]
	v_add_f64 v[106:107], v[231:232], -v[198:199]
	v_add_f64 v[104:105], v[159:160], v[238:239]
	s_waitcnt lgkmcnt(0)
	v_add_f64 v[144:145], v[2:3], v[210:211]
	v_mul_f64 v[2:3], v[244:245], s[18:19]
	v_mul_f64 v[234:235], v[223:224], s[24:25]
	v_add_f64 v[222:223], v[175:176], v[179:180]
	s_delay_alu instid0(VALU_DEP_4)
	v_fma_f64 v[210:211], v[210:211], s[20:21], v[144:145]
	s_waitcnt vmcnt(2)
	ds_load_b64 v[214:215], v0
	scratch_load_b64 v[0:1], off, off offset:148 ; 8-byte Folded Reload
	s_waitcnt vmcnt(2)
	v_add_f64 v[138:139], v[4:5], v[173:174]
	v_mul_f64 v[4:5], v[236:237], s[2:3]
	s_waitcnt vmcnt(1)
	v_add_f64 v[142:143], v[12:13], v[227:228]
	v_add_f64 v[12:13], v[238:239], -v[159:160]
	s_waitcnt lgkmcnt(0)
	v_add_f64 v[140:141], v[214:215], v[161:162]
	v_mul_f64 v[214:215], v[171:172], s[2:3]
	v_fma_f64 v[173:174], v[173:174], s[20:21], v[138:139]
	v_fma_f64 v[206:207], v[114:115], s[14:15], -v[4:5]
	v_fma_f64 v[114:115], v[114:115], s[10:11], v[254:255]
	v_fma_f64 v[227:228], v[227:228], s[20:21], v[142:143]
	v_add_f64 v[4:5], v[212:213], -v[131:132]
	v_fma_f64 v[161:162], v[161:162], s[20:21], v[140:141]
	v_fma_f64 v[185:186], v[149:150], s[14:15], -v[214:215]
	v_fma_f64 v[149:150], v[149:150], s[10:11], v[163:164]
	v_fma_f64 v[163:164], v[171:172], s[2:3], -v[163:164]
	;; [unrolled: 2-line block ×3, first 2 shown]
	v_add_f64 v[171:172], v[181:182], v[177:178]
	v_fma_f64 v[236:237], v[244:245], s[18:19], v[234:235]
	v_add_f64 v[10:11], v[10:11], v[173:174]
	v_fma_f64 v[206:207], v[127:128], s[0:1], v[206:207]
	v_add_f64 v[96:97], v[96:97], v[227:228]
	v_add_f64 v[6:7], v[6:7], v[161:162]
	v_add_f64 v[167:168], v[167:168], v[161:162]
	v_fma_f64 v[185:186], v[122:123], s[0:1], v[185:186]
	v_add_f64 v[231:232], v[236:237], v[210:211]
	s_waitcnt vmcnt(0)
	v_add_f64 v[108:109], v[0:1], v[183:184]
	v_add_f64 v[0:1], v[98:99], -v[189:190]
	v_add_f64 v[189:190], v[98:99], v[189:190]
	v_mul_f64 v[98:99], v[248:249], s[2:3]
	s_delay_alu instid0(VALU_DEP_4) | instskip(NEXT) | instid1(VALU_DEP_4)
	v_fma_f64 v[183:184], v[183:184], s[20:21], v[108:109]
	v_mul_f64 v[0:1], v[0:1], s[22:23]
	s_delay_alu instid0(VALU_DEP_4) | instskip(NEXT) | instid1(VALU_DEP_4)
	v_add_f64 v[118:119], v[118:119], v[189:190]
	v_fma_f64 v[98:99], v[153:154], s[14:15], -v[98:99]
	v_fma_f64 v[189:190], v[202:203], s[16:17], -v[193:194]
	;; [unrolled: 1-line block ×4, first 2 shown]
	v_add_f64 v[204:205], v[225:226], v[177:178]
	v_fma_f64 v[224:225], v[157:158], s[0:1], v[129:130]
	v_add_f64 v[129:130], v[116:117], v[177:178]
	v_fma_f64 v[157:158], v[157:158], s[0:1], v[102:103]
	v_add_f64 v[102:103], v[131:132], v[212:213]
	v_add_f64 v[177:178], v[112:113], v[173:174]
	;; [unrolled: 1-line block ×4, first 2 shown]
	v_fma_f64 v[162:163], v[122:123], s[0:1], v[163:164]
	v_fma_f64 v[173:174], v[127:128], s[0:1], v[120:121]
	v_mul_hi_u32 v132, 0xbf112a8b, v233
	v_add_f64 v[112:113], v[218:219], v[216:217]
	v_add_f64 v[181:182], v[125:126], v[183:184]
	v_fma_f64 v[124:125], v[153:154], s[10:11], v[187:188]
	v_fma_f64 v[240:241], v[246:247], s[10:11], v[0:1]
	v_fma_f64 v[153:154], v[191:192], s[16:17], -v[2:3]
	v_fma_f64 v[191:192], v[191:192], s[4:5], -v[234:235]
	v_fma_f64 v[187:188], v[248:249], s[2:3], -v[187:188]
	v_fma_f64 v[0:1], v[250:251], s[2:3], -v[0:1]
	v_add_f64 v[151:152], v[100:101], v[183:184]
	v_add_f64 v[2:3], v[135:136], v[133:134]
	v_add_f64 v[100:101], v[133:134], -v[135:136]
	v_fma_f64 v[136:137], v[122:123], s[0:1], v[149:150]
	v_add_f64 v[169:170], v[169:170], v[183:184]
	v_fma_f64 v[183:184], v[127:128], s[0:1], v[114:115]
	v_fma_f64 v[98:99], v[229:230], s[0:1], v[98:99]
	v_add_f64 v[238:239], v[189:190], v[227:228]
	v_add_f64 v[126:127], v[129:130], -v[8:9]
	v_add_f64 v[130:131], v[8:9], v[129:130]
	v_lshrrev_b32_e32 v8, 8, v132
	v_fma_f64 v[194:195], v[118:119], s[0:1], v[193:194]
	v_add_f64 v[122:123], v[200:201], v[204:205]
	v_add_f64 v[134:135], v[204:205], -v[200:201]
	v_add_f64 v[148:149], v[171:172], -v[146:147]
	v_mul_u32_u24_e32 v8, 0x157, v8
	v_add_f64 v[160:161], v[165:166], -v[162:163]
	v_add_f64 v[164:165], v[162:163], v[165:166]
	v_add_f64 v[162:163], v[10:11], -v[173:174]
	v_add_f64 v[114:115], v[179:180], -v[175:176]
	v_sub_nc_u32_e32 v200, v233, v8
	s_delay_alu instid0(VALU_DEP_1)
	v_mad_u64_u32 v[8:9], null, s12, v200, 0
	v_add_f64 v[116:117], v[181:182], -v[214:215]
	v_fma_f64 v[198:199], v[229:230], s[0:1], v[124:125]
	v_fma_f64 v[234:235], v[118:119], s[0:1], v[240:241]
	v_add_f64 v[236:237], v[153:154], v[210:211]
	v_add_f64 v[189:190], v[191:192], v[210:211]
	v_fma_f64 v[187:188], v[229:230], s[0:1], v[187:188]
	v_add_f64 v[191:192], v[202:203], v[227:228]
	v_fma_f64 v[0:1], v[118:119], s[0:1], v[0:1]
	v_add_f64 v[118:119], v[146:147], v[171:172]
	v_add_f64 v[124:125], v[157:158], v[151:152]
	v_add_f64 v[128:129], v[151:152], -v[157:158]
	v_add_f64 v[152:153], v[136:137], v[6:7]
	v_add_f64 v[158:159], v[173:174], v[10:11]
	v_add_f64 v[172:173], v[6:7], -v[136:137]
	v_mov_b32_e32 v6, v9
	v_add_f64 v[120:121], v[169:170], -v[224:225]
	v_add_f64 v[132:133], v[224:225], v[169:170]
	v_add_f64 v[146:147], v[214:215], v[181:182]
	v_add_f64 v[150:151], v[177:178], -v[183:184]
	v_mad_u64_u32 v[9:10], null, s13, v200, v[6:7]
	v_add_f64 v[156:157], v[185:186], v[167:168]
	v_add_f64 v[168:169], v[167:168], -v[185:186]
	v_add_f64 v[170:171], v[183:184], v[177:178]
	v_add_f64 v[178:179], v[238:239], -v[194:195]
	;; [unrolled: 2-line block ×3, first 2 shown]
	v_lshlrev_b64 v[8:9], 4, v[8:9]
	v_add_f64 v[203:204], v[231:232], -v[198:199]
	v_add_f64 v[174:175], v[96:97], -v[234:235]
	v_add_f64 v[180:181], v[98:99], v[236:237]
	v_add_f64 v[201:202], v[234:235], v[96:97]
	v_add_f64 v[184:185], v[189:190], -v[187:188]
	v_add_f64 v[188:189], v[187:188], v[189:190]
	v_add_f64 v[182:183], v[0:1], v[191:192]
	v_add_f64 v[186:187], v[191:192], -v[0:1]
	v_add_f64 v[192:193], v[236:237], -v[98:99]
	v_add_nc_u32_e32 v98, 0x157, v200
	v_add_nc_u32_e32 v99, 0x2ae, v200
	v_lshlrev_b64 v[0:1], 4, v[208:209]
	v_add_f64 v[190:191], v[194:195], v[238:239]
	v_add_nc_u32_e32 v194, 0x405, v200
	v_mad_u64_u32 v[6:7], null, s12, v98, 0
	v_mad_u64_u32 v[10:11], null, s12, v99, 0
	v_add_co_u32 v136, vcc_lo, s6, v0
	v_add_co_ci_u32_e32 v137, vcc_lo, s7, v1, vcc_lo
	s_delay_alu instid0(VALU_DEP_4) | instskip(SKIP_4) | instid1(VALU_DEP_4)
	v_mad_u64_u32 v[96:97], null, s13, v98, v[7:8]
	v_lshlrev_b64 v[0:1], 4, v[196:197]
	v_mad_u64_u32 v[97:98], null, s13, v99, v[11:12]
	v_mad_u64_u32 v[98:99], null, s12, v194, 0
	v_add_nc_u32_e32 v196, 0x55c, v200
	v_add_co_u32 v136, vcc_lo, v136, v0
	v_add_co_ci_u32_e32 v137, vcc_lo, v137, v1, vcc_lo
	v_mov_b32_e32 v11, v97
	v_mov_b32_e32 v7, v96
	s_delay_alu instid0(VALU_DEP_4) | instskip(NEXT) | instid1(VALU_DEP_4)
	v_add_co_u32 v0, vcc_lo, v136, v8
	v_add_co_ci_u32_e32 v1, vcc_lo, v137, v9, vcc_lo
	s_delay_alu instid0(VALU_DEP_4) | instskip(SKIP_4) | instid1(VALU_DEP_4)
	v_lshlrev_b64 v[9:10], 4, v[10:11]
	v_dual_mov_b32 v8, v99 :: v_dual_add_nc_u32 v197, 0x6b3, v200
	v_lshlrev_b64 v[6:7], 4, v[6:7]
	v_add_f64 v[176:177], v[198:199], v[231:232]
	v_add_nc_u32_e32 v198, 49, v233
	v_mad_u64_u32 v[96:97], null, s13, v194, v[8:9]
	v_mad_u64_u32 v[194:195], null, s12, v196, 0
	v_add_co_u32 v6, vcc_lo, v136, v6
	v_add_co_ci_u32_e32 v7, vcc_lo, v137, v7, vcc_lo
	v_add_co_u32 v8, vcc_lo, v136, v9
	v_add_co_ci_u32_e32 v9, vcc_lo, v137, v10, vcc_lo
	v_dual_mov_b32 v10, v195 :: v_dual_mov_b32 v99, v96
	s_clause 0x2
	global_store_b128 v[0:1], v[142:145], off
	global_store_b128 v[6:7], v[201:204], off
	;; [unrolled: 1-line block ×3, first 2 shown]
	v_mad_u64_u32 v[96:97], null, s13, v196, v[10:11]
	v_mul_hi_u32 v97, 0xbf112a8b, v198
	v_mad_u64_u32 v[10:11], null, s12, v197, 0
	v_lshlrev_b64 v[0:1], 4, v[98:99]
	s_delay_alu instid0(VALU_DEP_4) | instskip(NEXT) | instid1(VALU_DEP_4)
	v_dual_mov_b32 v195, v96 :: v_dual_add_nc_u32 v98, 0x80a, v200
	v_lshrrev_b32_e32 v99, 8, v97
	s_delay_alu instid0(VALU_DEP_2) | instskip(SKIP_2) | instid1(VALU_DEP_4)
	v_mad_u64_u32 v[7:8], null, s12, v98, 0
	v_mov_b32_e32 v6, v11
	v_add_co_u32 v0, vcc_lo, v136, v0
	v_mul_u32_u24_e32 v9, 0x157, v99
	v_add_co_ci_u32_e32 v1, vcc_lo, v137, v1, vcc_lo
	s_delay_alu instid0(VALU_DEP_4) | instskip(NEXT) | instid1(VALU_DEP_3)
	v_mad_u64_u32 v[96:97], null, s13, v197, v[6:7]
	v_sub_nc_u32_e32 v142, v198, v9
	v_mov_b32_e32 v6, v8
	v_lshlrev_b64 v[8:9], 4, v[194:195]
	s_delay_alu instid0(VALU_DEP_3) | instskip(SKIP_1) | instid1(VALU_DEP_4)
	v_mad_u32_u24 v194, 0x961, v99, v142
	v_mov_b32_e32 v11, v96
	v_mad_u64_u32 v[96:97], null, s13, v98, v[6:7]
	s_delay_alu instid0(VALU_DEP_4) | instskip(NEXT) | instid1(VALU_DEP_4)
	v_add_co_u32 v97, vcc_lo, v136, v8
	v_add_nc_u32_e32 v99, 0x157, v194
	v_mad_u64_u32 v[142:143], null, s12, v194, 0
	v_add_co_ci_u32_e32 v98, vcc_lo, v137, v9, vcc_lo
	s_delay_alu instid0(VALU_DEP_3)
	v_mad_u64_u32 v[144:145], null, s12, v99, 0
	v_mov_b32_e32 v8, v96
	v_lshlrev_b64 v[9:10], 4, v[10:11]
	v_mov_b32_e32 v6, v143
	v_add_nc_u32_e32 v96, 0x2ae, v194
	s_clause 0x1
	global_store_b128 v[0:1], v[186:189], off
	global_store_b128 v[97:98], v[182:185], off
	v_lshlrev_b64 v[7:8], 4, v[7:8]
	v_mov_b32_e32 v11, v145
	v_add_co_u32 v9, vcc_lo, v136, v9
	v_add_co_ci_u32_e32 v10, vcc_lo, v137, v10, vcc_lo
	s_delay_alu instid0(VALU_DEP_4) | instskip(NEXT) | instid1(VALU_DEP_4)
	v_mad_u64_u32 v[190:191], null, s13, v194, v[6:7]
	v_mad_u64_u32 v[191:192], null, s13, v99, v[11:12]
	;; [unrolled: 1-line block ×3, first 2 shown]
	v_add_co_u32 v6, vcc_lo, v136, v7
	s_delay_alu instid0(VALU_DEP_4)
	v_mov_b32_e32 v143, v190
	v_add_co_ci_u32_e32 v7, vcc_lo, v137, v8, vcc_lo
	s_clause 0x1
	global_store_b128 v[9:10], v[178:181], off
	global_store_b128 v[6:7], v[174:177], off
	v_mov_b32_e32 v0, v193
	v_lshlrev_b64 v[6:7], 4, v[142:143]
	v_dual_mov_b32 v145, v191 :: v_dual_add_nc_u32 v142, 0x405, v194
	v_add_nc_u32_e32 v177, 0x62, v233
	s_delay_alu instid0(VALU_DEP_4) | instskip(NEXT) | instid1(VALU_DEP_3)
	v_mad_u64_u32 v[8:9], null, s13, v96, v[0:1]
	v_mad_u64_u32 v[9:10], null, s12, v142, 0
	s_delay_alu instid0(VALU_DEP_4) | instskip(SKIP_2) | instid1(VALU_DEP_4)
	v_lshlrev_b64 v[0:1], 4, v[144:145]
	v_add_co_u32 v6, vcc_lo, v136, v6
	v_add_co_ci_u32_e32 v7, vcc_lo, v137, v7, vcc_lo
	v_dual_mov_b32 v193, v8 :: v_dual_mov_b32 v8, v10
	s_delay_alu instid0(VALU_DEP_4) | instskip(SKIP_1) | instid1(VALU_DEP_3)
	v_add_co_u32 v0, vcc_lo, v136, v0
	v_add_nc_u32_e32 v176, 0x55c, v194
	v_lshlrev_b64 v[10:11], 4, v[192:193]
	v_add_co_ci_u32_e32 v1, vcc_lo, v137, v1, vcc_lo
	v_mad_u64_u32 v[98:99], null, s13, v142, v[8:9]
	v_add_nc_u32_e32 v99, 0x6b3, v194
	s_delay_alu instid0(VALU_DEP_4)
	v_add_co_u32 v142, vcc_lo, v136, v10
	v_add_co_ci_u32_e32 v143, vcc_lo, v137, v11, vcc_lo
	v_mul_hi_u32 v11, 0xbf112a8b, v177
	v_mad_u64_u32 v[96:97], null, s12, v176, 0
	v_mad_u64_u32 v[144:145], null, s12, v99, 0
	v_mov_b32_e32 v10, v98
	s_clause 0x2
	global_store_b128 v[6:7], v[138:141], off
	global_store_b128 v[0:1], v[170:173], off
	;; [unrolled: 1-line block ×3, first 2 shown]
	v_add_nc_u32_e32 v140, 0x80a, v194
	v_lshrrev_b32_e32 v11, 8, v11
	v_mov_b32_e32 v8, v97
	v_lshlrev_b64 v[0:1], 4, v[9:10]
	v_mov_b32_e32 v6, v145
	s_delay_alu instid0(VALU_DEP_4) | instskip(NEXT) | instid1(VALU_DEP_4)
	v_mul_u32_u24_e32 v10, 0x157, v11
	v_mad_u64_u32 v[174:175], null, s13, v176, v[8:9]
	s_delay_alu instid0(VALU_DEP_3) | instskip(NEXT) | instid1(VALU_DEP_3)
	v_mad_u64_u32 v[7:8], null, s13, v99, v[6:7]
	v_sub_nc_u32_e32 v6, v177, v10
	v_mad_u64_u32 v[8:9], null, s12, v140, 0
	v_add_co_u32 v0, vcc_lo, v136, v0
	v_mov_b32_e32 v97, v174
	s_delay_alu instid0(VALU_DEP_4) | instskip(SKIP_2) | instid1(VALU_DEP_4)
	v_mad_u32_u24 v143, 0x961, v11, v6
	v_mov_b32_e32 v145, v7
	v_add_co_ci_u32_e32 v1, vcc_lo, v137, v1, vcc_lo
	v_lshlrev_b64 v[10:11], 4, v[96:97]
	s_delay_alu instid0(VALU_DEP_4) | instskip(SKIP_4) | instid1(VALU_DEP_4)
	v_mad_u64_u32 v[96:97], null, s12, v143, 0
	v_mov_b32_e32 v6, v9
	v_lshlrev_b64 v[98:99], 4, v[144:145]
	v_add_nc_u32_e32 v144, 0x157, v143
	v_add_co_u32 v10, vcc_lo, v136, v10
	v_mad_u64_u32 v[138:139], null, s13, v140, v[6:7]
	v_mov_b32_e32 v6, v97
	s_delay_alu instid0(VALU_DEP_4) | instskip(SKIP_2) | instid1(VALU_DEP_4)
	v_mad_u64_u32 v[139:140], null, s12, v144, 0
	v_add_co_ci_u32_e32 v11, vcc_lo, v137, v11, vcc_lo
	v_add_co_u32 v97, vcc_lo, v136, v98
	v_mad_u64_u32 v[141:142], null, s13, v143, v[6:7]
	v_add_co_ci_u32_e32 v98, vcc_lo, v137, v99, vcc_lo
	v_mov_b32_e32 v9, v138
	s_clause 0x2
	global_store_b128 v[0:1], v[162:165], off
	global_store_b128 v[10:11], v[158:161], off
	;; [unrolled: 1-line block ×3, first 2 shown]
	v_mov_b32_e32 v0, v140
	v_dual_mov_b32 v97, v141 :: v_dual_add_nc_u32 v138, 0x2ae, v143
	v_add_nc_u32_e32 v142, 0x405, v143
	v_lshlrev_b64 v[6:7], 4, v[8:9]
	s_delay_alu instid0(VALU_DEP_4) | instskip(NEXT) | instid1(VALU_DEP_4)
	v_mad_u64_u32 v[8:9], null, s13, v144, v[0:1]
	v_mad_u64_u32 v[0:1], null, s12, v138, 0
	v_lshlrev_b64 v[9:10], 4, v[96:97]
	v_mad_u64_u32 v[96:97], null, s12, v142, 0
	v_add_co_u32 v6, vcc_lo, v136, v6
	v_mov_b32_e32 v140, v8
	v_mad_u64_u32 v[98:99], null, s13, v138, v[1:2]
	v_add_nc_u32_e32 v99, 0x55c, v143
	v_mov_b32_e32 v1, v97
	v_add_co_ci_u32_e32 v7, vcc_lo, v137, v7, vcc_lo
	v_add_co_u32 v8, vcc_lo, v136, v9
	v_add_co_ci_u32_e32 v9, vcc_lo, v137, v10, vcc_lo
	v_lshlrev_b64 v[10:11], 4, v[139:140]
	v_mad_u64_u32 v[138:139], null, s12, v99, 0
	v_mad_u64_u32 v[140:141], null, s13, v142, v[1:2]
	v_dual_mov_b32 v1, v98 :: v_dual_add_nc_u32 v98, 0x93, v233
	s_clause 0x1
	global_store_b128 v[6:7], v[150:153], off
	global_store_b128 v[8:9], v[108:111], off
	v_mov_b32_e32 v6, v139
	v_add_co_u32 v10, vcc_lo, v136, v10
	v_mul_hi_u32 v9, 0xbf112a8b, v98
	v_add_co_ci_u32_e32 v11, vcc_lo, v137, v11, vcc_lo
	s_delay_alu instid0(VALU_DEP_4)
	v_mad_u64_u32 v[7:8], null, s13, v99, v[6:7]
	v_mov_b32_e32 v97, v140
	global_store_b128 v[10:11], v[146:149], off
	v_lshlrev_b64 v[0:1], 4, v[0:1]
	v_lshrrev_b32_e32 v99, 8, v9
	v_add_nc_u32_e32 v108, 0x6b3, v143
	v_lshlrev_b64 v[8:9], 4, v[96:97]
	v_dual_mov_b32 v139, v7 :: v_dual_add_nc_u32 v140, 0x80a, v143
	s_delay_alu instid0(VALU_DEP_4) | instskip(SKIP_2) | instid1(VALU_DEP_3)
	v_mul_u32_u24_e32 v10, 0x157, v99
	v_add_co_u32 v0, vcc_lo, v136, v0
	v_mad_u64_u32 v[6:7], null, s12, v108, 0
	v_sub_nc_u32_e32 v98, v98, v10
	v_add_co_ci_u32_e32 v1, vcc_lo, v137, v1, vcc_lo
	v_add_co_u32 v8, vcc_lo, v136, v8
	s_delay_alu instid0(VALU_DEP_3) | instskip(SKIP_2) | instid1(VALU_DEP_4)
	v_mad_u32_u24 v141, 0x961, v99, v98
	v_lshlrev_b64 v[10:11], 4, v[138:139]
	v_mad_u64_u32 v[96:97], null, s12, v140, 0
	v_mad_u64_u32 v[98:99], null, s13, v108, v[7:8]
	s_delay_alu instid0(VALU_DEP_4) | instskip(SKIP_2) | instid1(VALU_DEP_3)
	v_add_nc_u32_e32 v99, 0x157, v141
	v_mad_u64_u32 v[108:109], null, s12, v141, 0
	v_add_co_ci_u32_e32 v9, vcc_lo, v137, v9, vcc_lo
	v_mad_u64_u32 v[110:111], null, s12, v99, 0
	v_add_co_u32 v10, vcc_lo, v136, v10
	v_add_co_ci_u32_e32 v11, vcc_lo, v137, v11, vcc_lo
	v_mov_b32_e32 v7, v97
	s_clause 0x2
	global_store_b128 v[0:1], v[132:135], off
	global_store_b128 v[8:9], v[128:131], off
	;; [unrolled: 1-line block ×3, first 2 shown]
	v_dual_mov_b32 v0, v109 :: v_dual_mov_b32 v1, v111
	v_add_nc_u32_e32 v124, 0x2ae, v141
	v_mad_u64_u32 v[138:139], null, s13, v140, v[7:8]
	v_mov_b32_e32 v7, v98
	s_delay_alu instid0(VALU_DEP_4) | instskip(SKIP_1) | instid1(VALU_DEP_3)
	v_mad_u64_u32 v[8:9], null, s13, v141, v[0:1]
	v_mad_u64_u32 v[9:10], null, s13, v99, v[1:2]
	v_lshlrev_b64 v[6:7], 4, v[6:7]
	v_mov_b32_e32 v97, v138
	v_add_nc_u32_e32 v125, 0x405, v141
	v_mov_b32_e32 v109, v8
	s_delay_alu instid0(VALU_DEP_4) | instskip(SKIP_2) | instid1(VALU_DEP_4)
	v_add_co_u32 v0, vcc_lo, v136, v6
	v_add_co_ci_u32_e32 v1, vcc_lo, v137, v7, vcc_lo
	v_lshlrev_b64 v[6:7], 4, v[96:97]
	v_lshlrev_b64 v[10:11], 4, v[108:109]
	v_mov_b32_e32 v111, v9
	v_mad_u64_u32 v[8:9], null, s12, v124, 0
	v_mad_u64_u32 v[98:99], null, s12, v125, 0
	v_add_co_u32 v6, vcc_lo, v136, v6
	v_add_co_ci_u32_e32 v7, vcc_lo, v137, v7, vcc_lo
	v_add_co_u32 v10, vcc_lo, v136, v10
	v_lshlrev_b64 v[96:97], 4, v[110:111]
	v_add_co_ci_u32_e32 v11, vcc_lo, v137, v11, vcc_lo
	s_delay_alu instid0(VALU_DEP_3) | instskip(SKIP_1) | instid1(VALU_DEP_4)
	v_mad_u64_u32 v[108:109], null, s13, v124, v[9:10]
	v_mov_b32_e32 v9, v99
	v_add_co_u32 v96, vcc_lo, v136, v96
	v_add_co_ci_u32_e32 v97, vcc_lo, v137, v97, vcc_lo
	s_delay_alu instid0(VALU_DEP_3)
	v_mad_u64_u32 v[109:110], null, s13, v125, v[9:10]
	v_dual_mov_b32 v9, v108 :: v_dual_add_nc_u32 v108, 0xc4, v233
	s_clause 0x3
	global_store_b128 v[0:1], v[120:123], off
	global_store_b128 v[6:7], v[116:119], off
	global_store_b128 v[10:11], v[92:95], off
	global_store_b128 v[96:97], v[112:115], off
	v_add_nc_u32_e32 v94, 0x55c, v141
	v_add_nc_u32_e32 v97, 0x6b3, v141
	v_lshlrev_b64 v[0:1], 4, v[8:9]
	v_mul_hi_u32 v92, 0xbf112a8b, v108
	v_mov_b32_e32 v99, v109
	v_mad_u64_u32 v[6:7], null, s12, v94, 0
	v_mad_u64_u32 v[8:9], null, s12, v97, 0
	s_delay_alu instid0(VALU_DEP_3) | instskip(SKIP_4) | instid1(VALU_DEP_3)
	v_lshlrev_b64 v[10:11], 4, v[98:99]
	v_add_nc_u32_e32 v98, 0x80a, v141
	v_lshrrev_b32_e32 v99, 8, v92
	v_add_co_u32 v0, vcc_lo, v136, v0
	v_add_co_ci_u32_e32 v1, vcc_lo, v137, v1, vcc_lo
	v_mul_u32_u24_e32 v109, 0x157, v99
	v_mad_u64_u32 v[92:93], null, s13, v94, v[7:8]
	v_mad_u64_u32 v[93:94], null, s12, v98, 0
	v_mov_b32_e32 v7, v9
	v_add_co_u32 v9, vcc_lo, v136, v10
	v_add_co_ci_u32_e32 v10, vcc_lo, v137, v11, vcc_lo
	v_sub_nc_u32_e32 v11, v108, v109
	s_clause 0x1
	global_store_b128 v[0:1], v[104:107], off
	global_store_b128 v[9:10], v[100:103], off
	v_mad_u64_u32 v[95:96], null, s13, v97, v[7:8]
	v_mad_u32_u24 v99, 0x961, v99, v11
	v_dual_mov_b32 v0, v94 :: v_dual_mov_b32 v7, v92
	s_delay_alu instid0(VALU_DEP_2) | instskip(NEXT) | instid1(VALU_DEP_2)
	v_add_nc_u32_e32 v101, 0x2ae, v99
	v_mad_u64_u32 v[10:11], null, s13, v98, v[0:1]
	v_dual_mov_b32 v9, v95 :: v_dual_add_nc_u32 v100, 0x157, v99
	s_delay_alu instid0(VALU_DEP_4) | instskip(SKIP_1) | instid1(VALU_DEP_3)
	v_lshlrev_b64 v[6:7], 4, v[6:7]
	v_mad_u64_u32 v[0:1], null, s12, v99, 0
	v_lshlrev_b64 v[8:9], 4, v[8:9]
	v_mov_b32_e32 v94, v10
	v_mad_u64_u32 v[10:11], null, s12, v100, 0
	v_add_co_u32 v6, vcc_lo, v136, v6
	s_delay_alu instid0(VALU_DEP_3)
	v_lshlrev_b64 v[92:93], 4, v[93:94]
	v_add_co_ci_u32_e32 v7, vcc_lo, v137, v7, vcc_lo
	v_mad_u64_u32 v[94:95], null, s13, v99, v[1:2]
	v_add_co_u32 v8, vcc_lo, v136, v8
	v_mad_u64_u32 v[95:96], null, s12, v101, 0
	v_add_co_ci_u32_e32 v9, vcc_lo, v137, v9, vcc_lo
	v_mov_b32_e32 v1, v11
	v_add_co_u32 v92, vcc_lo, v136, v92
	v_add_co_ci_u32_e32 v93, vcc_lo, v137, v93, vcc_lo
	s_delay_alu instid0(VALU_DEP_3)
	v_mad_u64_u32 v[97:98], null, s13, v100, v[1:2]
	s_clause 0x2
	global_store_b128 v[6:7], v[2:5], off
	global_store_b128 v[8:9], v[12:15], off
	;; [unrolled: 1-line block ×3, first 2 shown]
	v_dual_mov_b32 v2, v96 :: v_dual_add_nc_u32 v15, 0x55c, v99
	v_dual_mov_b32 v1, v94 :: v_dual_add_nc_u32 v14, 0x405, v99
	;; [unrolled: 1-line block ×3, first 2 shown]
	s_delay_alu instid0(VALU_DEP_3) | instskip(NEXT) | instid1(VALU_DEP_3)
	v_mad_u64_u32 v[3:4], null, s13, v101, v[2:3]
	v_mad_u64_u32 v[4:5], null, s12, v14, 0
	;; [unrolled: 1-line block ×3, first 2 shown]
	v_lshlrev_b64 v[0:1], 4, v[0:1]
	v_lshlrev_b64 v[6:7], 4, v[10:11]
	v_mov_b32_e32 v96, v3
	v_mov_b32_e32 v2, v5
	s_delay_alu instid0(VALU_DEP_4) | instskip(NEXT) | instid1(VALU_DEP_3)
	v_add_co_u32 v0, vcc_lo, v136, v0
	v_lshlrev_b64 v[10:11], 4, v[95:96]
	s_delay_alu instid0(VALU_DEP_3)
	v_mad_u64_u32 v[12:13], null, s13, v14, v[2:3]
	v_mul_hi_u32 v3, 0xbf112a8b, v92
	v_mov_b32_e32 v2, v9
	v_add_co_ci_u32_e32 v1, vcc_lo, v137, v1, vcc_lo
	v_add_co_u32 v6, vcc_lo, v136, v6
	v_add_co_ci_u32_e32 v7, vcc_lo, v137, v7, vcc_lo
	v_add_co_u32 v9, vcc_lo, v136, v10
	v_mad_u64_u32 v[13:14], null, s13, v15, v[2:3]
	v_add_co_ci_u32_e32 v10, vcc_lo, v137, v11, vcc_lo
	s_clause 0x2
	global_store_b128 v[0:1], v[64:67], off
	global_store_b128 v[6:7], v[88:91], off
	;; [unrolled: 1-line block ×3, first 2 shown]
	v_add_nc_u32_e32 v10, 0x6b3, v99
	v_lshrrev_b32_e32 v11, 8, v3
	v_mov_b32_e32 v5, v12
	v_mov_b32_e32 v9, v13
	v_add_nc_u32_e32 v13, 0x80a, v99
	v_mad_u64_u32 v[2:3], null, s12, v10, 0
	v_mul_u32_u24_e32 v6, 0x157, v11
	v_lshlrev_b64 v[0:1], 4, v[4:5]
	v_lshlrev_b64 v[4:5], 4, v[8:9]
	s_delay_alu instid0(VALU_DEP_3) | instskip(SKIP_1) | instid1(VALU_DEP_3)
	v_sub_nc_u32_e32 v12, v92, v6
	v_mad_u64_u32 v[6:7], null, s12, v13, 0
	v_mad_u64_u32 v[8:9], null, s13, v10, v[3:4]
	v_add_co_u32 v0, vcc_lo, v136, v0
	s_delay_alu instid0(VALU_DEP_4) | instskip(SKIP_3) | instid1(VALU_DEP_4)
	v_mad_u32_u24 v14, 0x961, v11, v12
	v_add_co_ci_u32_e32 v1, vcc_lo, v137, v1, vcc_lo
	v_add_co_u32 v4, vcc_lo, v136, v4
	v_add_co_ci_u32_e32 v5, vcc_lo, v137, v5, vcc_lo
	v_mad_u64_u32 v[9:10], null, s12, v14, 0
	v_mov_b32_e32 v3, v8
	v_mad_u64_u32 v[11:12], null, s13, v13, v[7:8]
	v_add_nc_u32_e32 v8, 0x157, v14
	s_clause 0x1
	global_store_b128 v[0:1], v[80:83], off
	global_store_b128 v[4:5], v[76:79], off
	v_lshlrev_b64 v[0:1], 4, v[2:3]
	v_mov_b32_e32 v2, v10
	v_mad_u64_u32 v[3:4], null, s12, v8, 0
	v_mov_b32_e32 v7, v11
	v_add_nc_u32_e32 v15, 0x6b3, v14
	v_add_co_u32 v0, vcc_lo, v136, v0
	v_add_co_ci_u32_e32 v1, vcc_lo, v137, v1, vcc_lo
	v_mad_u64_u32 v[10:11], null, s13, v14, v[2:3]
	v_mov_b32_e32 v2, v4
	v_lshlrev_b64 v[4:5], 4, v[6:7]
	v_add_nc_u32_e32 v12, 0x2ae, v14
	v_add_nc_u32_e32 v13, 0x405, v14
	global_store_b128 v[0:1], v[68:71], off
	v_mad_u64_u32 v[6:7], null, s13, v8, v[2:3]
	v_add_co_u32 v4, vcc_lo, v136, v4
	v_add_co_ci_u32_e32 v5, vcc_lo, v137, v5, vcc_lo
	v_mad_u64_u32 v[7:8], null, s12, v12, 0
	v_lshlrev_b64 v[0:1], 4, v[9:10]
	v_mad_u64_u32 v[9:10], null, s12, v13, 0
	global_store_b128 v[4:5], v[72:75], off
	v_mov_b32_e32 v4, v6
	v_mov_b32_e32 v2, v8
	v_add_co_u32 v0, vcc_lo, v136, v0
	s_delay_alu instid0(VALU_DEP_3) | instskip(SKIP_2) | instid1(VALU_DEP_3)
	v_lshlrev_b64 v[3:4], 4, v[3:4]
	v_mov_b32_e32 v5, v10
	v_add_co_ci_u32_e32 v1, vcc_lo, v137, v1, vcc_lo
	v_mad_u64_u32 v[10:11], null, s13, v12, v[2:3]
	s_delay_alu instid0(VALU_DEP_3) | instskip(SKIP_3) | instid1(VALU_DEP_3)
	v_mad_u64_u32 v[11:12], null, s13, v13, v[5:6]
	v_add_nc_u32_e32 v12, 0x126, v233
	v_add_co_u32 v2, vcc_lo, v136, v3
	v_add_co_ci_u32_e32 v3, vcc_lo, v137, v4, vcc_lo
	v_mul_hi_u32 v4, 0xbf112a8b, v12
	v_dual_mov_b32 v8, v10 :: v_dual_add_nc_u32 v13, 0x55c, v14
	v_mov_b32_e32 v10, v11
	s_clause 0x1
	global_store_b128 v[0:1], v[36:39], off
	global_store_b128 v[2:3], v[60:63], off
	v_mad_u64_u32 v[2:3], null, s12, v13, 0
	v_lshrrev_b32_e32 v11, 8, v4
	v_lshlrev_b64 v[0:1], 4, v[7:8]
	v_lshlrev_b64 v[4:5], 4, v[9:10]
	v_mad_u64_u32 v[6:7], null, s12, v15, 0
	s_delay_alu instid0(VALU_DEP_4) | instskip(SKIP_3) | instid1(VALU_DEP_4)
	v_mul_u32_u24_e32 v10, 0x157, v11
	v_add_nc_u32_e32 v14, 0x80a, v14
	v_add_co_u32 v0, vcc_lo, v136, v0
	v_mad_u64_u32 v[8:9], null, s13, v13, v[3:4]
	v_sub_nc_u32_e32 v12, v12, v10
	v_add_co_ci_u32_e32 v1, vcc_lo, v137, v1, vcc_lo
	v_add_co_u32 v4, vcc_lo, v136, v4
	v_mov_b32_e32 v3, v7
	v_mad_u64_u32 v[9:10], null, s12, v14, 0
	v_mad_u32_u24 v36, 0x961, v11, v12
	global_store_b128 v[0:1], v[56:59], off
	v_mad_u64_u32 v[11:12], null, s13, v15, v[3:4]
	v_mov_b32_e32 v3, v8
	v_mad_u64_u32 v[12:13], null, s12, v36, 0
	v_add_co_ci_u32_e32 v5, vcc_lo, v137, v5, vcc_lo
	s_delay_alu instid0(VALU_DEP_3)
	v_lshlrev_b64 v[1:2], 4, v[2:3]
	v_dual_mov_b32 v0, v10 :: v_dual_mov_b32 v7, v11
	global_store_b128 v[4:5], v[52:55], off
	v_add_nc_u32_e32 v11, 0x157, v36
	v_mad_u64_u32 v[3:4], null, s13, v14, v[0:1]
	v_mov_b32_e32 v0, v13
	v_add_co_u32 v1, vcc_lo, v136, v1
	v_lshlrev_b64 v[4:5], 4, v[6:7]
	v_add_co_ci_u32_e32 v2, vcc_lo, v137, v2, vcc_lo
	s_delay_alu instid0(VALU_DEP_3) | instskip(SKIP_1) | instid1(VALU_DEP_4)
	v_mad_u64_u32 v[6:7], null, s13, v36, v[0:1]
	v_mov_b32_e32 v10, v3
	v_add_co_u32 v3, vcc_lo, v136, v4
	v_add_co_ci_u32_e32 v4, vcc_lo, v137, v5, vcc_lo
	global_store_b128 v[1:2], v[44:47], off
	v_mov_b32_e32 v13, v6
	v_mad_u64_u32 v[7:8], null, s12, v11, 0
	global_store_b128 v[3:4], v[48:51], off
	v_lshlrev_b64 v[1:2], 4, v[9:10]
	v_lshlrev_b64 v[3:4], 4, v[12:13]
	scratch_load_b128 v[12:15], off, off offset:24 ; 16-byte Folded Reload
	v_add_nc_u32_e32 v10, 0x2ae, v36
	v_mov_b32_e32 v0, v8
	s_delay_alu instid0(VALU_DEP_1)
	v_mad_u64_u32 v[5:6], null, s13, v11, v[0:1]
	v_add_co_u32 v0, vcc_lo, v136, v1
	v_add_co_ci_u32_e32 v1, vcc_lo, v137, v2, vcc_lo
	v_add_co_u32 v2, vcc_lo, v136, v3
	v_add_co_ci_u32_e32 v3, vcc_lo, v137, v4, vcc_lo
	v_mov_b32_e32 v8, v5
	global_store_b128 v[0:1], v[40:43], off
	v_add_nc_u32_e32 v11, 0x405, v36
	v_mad_u64_u32 v[4:5], null, s12, v10, 0
	v_lshlrev_b64 v[0:1], 4, v[7:8]
	s_delay_alu instid0(VALU_DEP_1) | instskip(NEXT) | instid1(VALU_DEP_2)
	v_add_co_u32 v0, vcc_lo, v136, v0
	v_add_co_ci_u32_e32 v1, vcc_lo, v137, v1, vcc_lo
	s_waitcnt vmcnt(0)
	global_store_b128 v[2:3], v[12:15], off
	v_add_nc_u32_e32 v14, 0x55c, v36
	v_mad_u64_u32 v[2:3], null, s12, v11, 0
	v_add_nc_u32_e32 v15, 0x6b3, v36
	v_add_nc_u32_e32 v36, 0x80a, v36
	s_delay_alu instid0(VALU_DEP_4)
	v_mad_u64_u32 v[6:7], null, s12, v14, 0
	global_store_b128 v[0:1], v[32:35], off
	v_mad_u64_u32 v[8:9], null, s13, v10, v[5:6]
	v_mad_u64_u32 v[9:10], null, s13, v11, v[3:4]
	;; [unrolled: 1-line block ×3, first 2 shown]
	v_mov_b32_e32 v3, v7
	s_delay_alu instid0(VALU_DEP_4) | instskip(NEXT) | instid1(VALU_DEP_2)
	v_mov_b32_e32 v5, v8
	v_mad_u64_u32 v[12:13], null, s13, v14, v[3:4]
	s_delay_alu instid0(VALU_DEP_4) | instskip(SKIP_3) | instid1(VALU_DEP_4)
	v_mov_b32_e32 v0, v11
	v_mad_u64_u32 v[13:14], null, s12, v36, 0
	v_mov_b32_e32 v3, v9
	v_lshlrev_b64 v[4:5], 4, v[4:5]
	v_mad_u64_u32 v[8:9], null, s13, v15, v[0:1]
	v_mov_b32_e32 v7, v12
	s_delay_alu instid0(VALU_DEP_4)
	v_lshlrev_b64 v[1:2], 4, v[2:3]
	v_mov_b32_e32 v0, v14
	v_add_co_u32 v4, vcc_lo, v136, v4
	v_add_co_ci_u32_e32 v5, vcc_lo, v137, v5, vcc_lo
	v_mov_b32_e32 v11, v8
	v_lshlrev_b64 v[6:7], 4, v[6:7]
	v_mad_u64_u32 v[14:15], null, s13, v36, v[0:1]
	v_add_co_u32 v0, vcc_lo, v136, v1
	v_add_co_ci_u32_e32 v1, vcc_lo, v137, v2, vcc_lo
	v_lshlrev_b64 v[2:3], 4, v[10:11]
	v_add_co_u32 v6, vcc_lo, v136, v6
	v_add_co_ci_u32_e32 v7, vcc_lo, v137, v7, vcc_lo
	v_lshlrev_b64 v[8:9], 4, v[13:14]
	s_delay_alu instid0(VALU_DEP_4)
	v_add_co_u32 v2, vcc_lo, v136, v2
	v_add_co_ci_u32_e32 v3, vcc_lo, v137, v3, vcc_lo
	s_clause 0x3
	global_store_b128 v[4:5], v[28:31], off
	global_store_b128 v[0:1], v[24:27], off
	;; [unrolled: 1-line block ×4, first 2 shown]
	scratch_load_b128 v[0:3], off, off offset:4 ; 16-byte Folded Reload
	v_add_co_u32 v8, vcc_lo, v136, v8
	v_add_co_ci_u32_e32 v9, vcc_lo, v137, v9, vcc_lo
	s_waitcnt vmcnt(0)
	global_store_b128 v[8:9], v[0:3], off
.LBB0_15:
	s_endpgm
	.section	.rodata,"a",@progbits
	.p2align	6, 0x0
	.amdhsa_kernel fft_rtc_fwd_len2401_factors_7_7_7_7_wgs_49_tpt_49_halfLds_dp_op_CI_CI_sbrr_dirReg
		.amdhsa_group_segment_fixed_size 0
		.amdhsa_private_segment_fixed_size 464
		.amdhsa_kernarg_size 104
		.amdhsa_user_sgpr_count 15
		.amdhsa_user_sgpr_dispatch_ptr 0
		.amdhsa_user_sgpr_queue_ptr 0
		.amdhsa_user_sgpr_kernarg_segment_ptr 1
		.amdhsa_user_sgpr_dispatch_id 0
		.amdhsa_user_sgpr_private_segment_size 0
		.amdhsa_wavefront_size32 1
		.amdhsa_uses_dynamic_stack 0
		.amdhsa_enable_private_segment 1
		.amdhsa_system_sgpr_workgroup_id_x 1
		.amdhsa_system_sgpr_workgroup_id_y 0
		.amdhsa_system_sgpr_workgroup_id_z 0
		.amdhsa_system_sgpr_workgroup_info 0
		.amdhsa_system_vgpr_workitem_id 0
		.amdhsa_next_free_vgpr 256
		.amdhsa_next_free_sgpr 31
		.amdhsa_reserve_vcc 1
		.amdhsa_float_round_mode_32 0
		.amdhsa_float_round_mode_16_64 0
		.amdhsa_float_denorm_mode_32 3
		.amdhsa_float_denorm_mode_16_64 3
		.amdhsa_dx10_clamp 1
		.amdhsa_ieee_mode 1
		.amdhsa_fp16_overflow 0
		.amdhsa_workgroup_processor_mode 1
		.amdhsa_memory_ordered 1
		.amdhsa_forward_progress 0
		.amdhsa_shared_vgpr_count 0
		.amdhsa_exception_fp_ieee_invalid_op 0
		.amdhsa_exception_fp_denorm_src 0
		.amdhsa_exception_fp_ieee_div_zero 0
		.amdhsa_exception_fp_ieee_overflow 0
		.amdhsa_exception_fp_ieee_underflow 0
		.amdhsa_exception_fp_ieee_inexact 0
		.amdhsa_exception_int_div_zero 0
	.end_amdhsa_kernel
	.text
.Lfunc_end0:
	.size	fft_rtc_fwd_len2401_factors_7_7_7_7_wgs_49_tpt_49_halfLds_dp_op_CI_CI_sbrr_dirReg, .Lfunc_end0-fft_rtc_fwd_len2401_factors_7_7_7_7_wgs_49_tpt_49_halfLds_dp_op_CI_CI_sbrr_dirReg
                                        ; -- End function
	.section	.AMDGPU.csdata,"",@progbits
; Kernel info:
; codeLenInByte = 41748
; NumSgprs: 33
; NumVgprs: 256
; ScratchSize: 464
; MemoryBound: 1
; FloatMode: 240
; IeeeMode: 1
; LDSByteSize: 0 bytes/workgroup (compile time only)
; SGPRBlocks: 4
; VGPRBlocks: 31
; NumSGPRsForWavesPerEU: 33
; NumVGPRsForWavesPerEU: 256
; Occupancy: 5
; WaveLimiterHint : 1
; COMPUTE_PGM_RSRC2:SCRATCH_EN: 1
; COMPUTE_PGM_RSRC2:USER_SGPR: 15
; COMPUTE_PGM_RSRC2:TRAP_HANDLER: 0
; COMPUTE_PGM_RSRC2:TGID_X_EN: 1
; COMPUTE_PGM_RSRC2:TGID_Y_EN: 0
; COMPUTE_PGM_RSRC2:TGID_Z_EN: 0
; COMPUTE_PGM_RSRC2:TIDIG_COMP_CNT: 0
	.text
	.p2alignl 7, 3214868480
	.fill 96, 4, 3214868480
	.type	__hip_cuid_6cc70b26582570cf,@object ; @__hip_cuid_6cc70b26582570cf
	.section	.bss,"aw",@nobits
	.globl	__hip_cuid_6cc70b26582570cf
__hip_cuid_6cc70b26582570cf:
	.byte	0                               ; 0x0
	.size	__hip_cuid_6cc70b26582570cf, 1

	.ident	"AMD clang version 19.0.0git (https://github.com/RadeonOpenCompute/llvm-project roc-6.4.0 25133 c7fe45cf4b819c5991fe208aaa96edf142730f1d)"
	.section	".note.GNU-stack","",@progbits
	.addrsig
	.addrsig_sym __hip_cuid_6cc70b26582570cf
	.amdgpu_metadata
---
amdhsa.kernels:
  - .args:
      - .actual_access:  read_only
        .address_space:  global
        .offset:         0
        .size:           8
        .value_kind:     global_buffer
      - .offset:         8
        .size:           8
        .value_kind:     by_value
      - .actual_access:  read_only
        .address_space:  global
        .offset:         16
        .size:           8
        .value_kind:     global_buffer
      - .actual_access:  read_only
        .address_space:  global
        .offset:         24
        .size:           8
        .value_kind:     global_buffer
      - .actual_access:  read_only
        .address_space:  global
        .offset:         32
        .size:           8
        .value_kind:     global_buffer
      - .offset:         40
        .size:           8
        .value_kind:     by_value
      - .actual_access:  read_only
        .address_space:  global
        .offset:         48
        .size:           8
        .value_kind:     global_buffer
      - .actual_access:  read_only
        .address_space:  global
        .offset:         56
        .size:           8
        .value_kind:     global_buffer
      - .offset:         64
        .size:           4
        .value_kind:     by_value
      - .actual_access:  read_only
        .address_space:  global
        .offset:         72
        .size:           8
        .value_kind:     global_buffer
      - .actual_access:  read_only
        .address_space:  global
        .offset:         80
        .size:           8
        .value_kind:     global_buffer
      - .actual_access:  read_only
        .address_space:  global
        .offset:         88
        .size:           8
        .value_kind:     global_buffer
      - .actual_access:  write_only
        .address_space:  global
        .offset:         96
        .size:           8
        .value_kind:     global_buffer
    .group_segment_fixed_size: 0
    .kernarg_segment_align: 8
    .kernarg_segment_size: 104
    .language:       OpenCL C
    .language_version:
      - 2
      - 0
    .max_flat_workgroup_size: 49
    .name:           fft_rtc_fwd_len2401_factors_7_7_7_7_wgs_49_tpt_49_halfLds_dp_op_CI_CI_sbrr_dirReg
    .private_segment_fixed_size: 464
    .sgpr_count:     33
    .sgpr_spill_count: 0
    .symbol:         fft_rtc_fwd_len2401_factors_7_7_7_7_wgs_49_tpt_49_halfLds_dp_op_CI_CI_sbrr_dirReg.kd
    .uniform_work_group_size: 1
    .uses_dynamic_stack: false
    .vgpr_count:     256
    .vgpr_spill_count: 223
    .wavefront_size: 32
    .workgroup_processor_mode: 1
amdhsa.target:   amdgcn-amd-amdhsa--gfx1100
amdhsa.version:
  - 1
  - 2
...

	.end_amdgpu_metadata
